;; amdgpu-corpus repo=LLNL/RAJAPerf kind=compiled arch=gfx906 opt=O3
	.amdgcn_target "amdgcn-amd-amdhsa--gfx906"
	.amdhsa_code_object_version 6
	.section	.text._ZN8rajaperf9polybench16poly_jacobi_2D_1ILm32ELm8EEEvPdS2_l,"axG",@progbits,_ZN8rajaperf9polybench16poly_jacobi_2D_1ILm32ELm8EEEvPdS2_l,comdat
	.protected	_ZN8rajaperf9polybench16poly_jacobi_2D_1ILm32ELm8EEEvPdS2_l ; -- Begin function _ZN8rajaperf9polybench16poly_jacobi_2D_1ILm32ELm8EEEvPdS2_l
	.globl	_ZN8rajaperf9polybench16poly_jacobi_2D_1ILm32ELm8EEEvPdS2_l
	.p2align	8
	.type	_ZN8rajaperf9polybench16poly_jacobi_2D_1ILm32ELm8EEEvPdS2_l,@function
_ZN8rajaperf9polybench16poly_jacobi_2D_1ILm32ELm8EEEvPdS2_l: ; @_ZN8rajaperf9polybench16poly_jacobi_2D_1ILm32ELm8EEEvPdS2_l
; %bb.0:
	s_load_dwordx2 s[8:9], s[4:5], 0x10
	s_mov_b32 s0, s7
	s_mov_b32 s1, 0
	s_lshl_b64 s[2:3], s[0:1], 3
	v_add_u32_e32 v1, 1, v1
	v_mov_b32_e32 v2, s3
	v_add_co_u32_e32 v1, vcc, s2, v1
	s_mov_b32 s7, s1
	v_addc_co_u32_e32 v2, vcc, 0, v2, vcc
	s_lshl_b64 s[6:7], s[6:7], 5
	v_add_u32_e32 v3, 1, v0
	v_mov_b32_e32 v4, s7
	v_add_co_u32_e32 v3, vcc, s6, v3
	s_waitcnt lgkmcnt(0)
	s_add_u32 s0, s8, -1
	v_addc_co_u32_e32 v4, vcc, 0, v4, vcc
	s_addc_u32 s1, s9, -1
	v_cmp_gt_i64_e32 vcc, s[0:1], v[1:2]
	v_cmp_gt_i64_e64 s[0:1], s[0:1], v[3:4]
	s_and_b64 s[0:1], vcc, s[0:1]
	s_and_saveexec_b64 s[2:3], s[0:1]
	s_cbranch_execz .LBB0_2
; %bb.1:
	v_mad_u64_u32 v[4:5], s[0:1], v1, s8, 0
	v_mul_lo_u32 v2, v2, s8
	v_mul_lo_u32 v3, v1, s9
	s_load_dwordx4 s[0:3], s[4:5], 0x0
	v_mov_b32_e32 v1, s7
	v_add_co_u32_e32 v0, vcc, s6, v0
	v_addc_co_u32_e32 v1, vcc, 0, v1, vcc
	v_lshlrev_b64 v[6:7], 3, v[0:1]
	v_add3_u32 v5, v5, v3, v2
	s_waitcnt lgkmcnt(0)
	v_mov_b32_e32 v0, s1
	v_add_co_u32_e32 v14, vcc, s0, v6
	v_lshlrev_b64 v[8:9], 3, v[4:5]
	v_addc_co_u32_e32 v15, vcc, v0, v7, vcc
	v_add_co_u32_e32 v10, vcc, v14, v8
	v_addc_co_u32_e32 v11, vcc, v15, v9, vcc
	global_load_dwordx4 v[0:3], v[10:11], off
	global_load_dwordx2 v[12:13], v[10:11], off offset:16
	v_mov_b32_e32 v16, s9
	v_add_co_u32_e32 v17, vcc, s8, v4
	v_addc_co_u32_e32 v16, vcc, v5, v16, vcc
	s_lshl_b64 s[0:1], s[8:9], 3
	v_mov_b32_e32 v5, s1
	v_add_co_u32_e32 v4, vcc, s0, v10
	v_addc_co_u32_e32 v5, vcc, v11, v5, vcc
	global_load_dwordx2 v[4:5], v[4:5], off offset:8
	s_lshl_b64 s[0:1], s[8:9], 1
	v_mov_b32_e32 v11, s1
	v_subrev_co_u32_e32 v10, vcc, s0, v17
	v_subb_co_u32_e32 v11, vcc, v16, v11, vcc
	v_lshlrev_b64 v[10:11], 3, v[10:11]
	s_mov_b32 s0, 0x9999999a
	v_add_co_u32_e32 v10, vcc, v14, v10
	v_addc_co_u32_e32 v11, vcc, v15, v11, vcc
	global_load_dwordx2 v[10:11], v[10:11], off offset:8
	s_mov_b32 s1, 0x3fc99999
	s_waitcnt vmcnt(3)
	v_add_f64 v[0:1], v[2:3], v[0:1]
	v_mov_b32_e32 v2, s3
	v_add_co_u32_e32 v3, vcc, s2, v8
	s_waitcnt vmcnt(2)
	v_add_f64 v[0:1], v[0:1], v[12:13]
	s_waitcnt vmcnt(1)
	v_add_f64 v[0:1], v[0:1], v[4:5]
	v_addc_co_u32_e32 v4, vcc, v2, v9, vcc
	v_add_co_u32_e32 v2, vcc, v3, v6
	v_addc_co_u32_e32 v3, vcc, v4, v7, vcc
	s_waitcnt vmcnt(0)
	v_add_f64 v[0:1], v[0:1], v[10:11]
	v_mul_f64 v[0:1], v[0:1], s[0:1]
	global_store_dwordx2 v[2:3], v[0:1], off offset:8
.LBB0_2:
	s_endpgm
	.section	.rodata,"a",@progbits
	.p2align	6, 0x0
	.amdhsa_kernel _ZN8rajaperf9polybench16poly_jacobi_2D_1ILm32ELm8EEEvPdS2_l
		.amdhsa_group_segment_fixed_size 0
		.amdhsa_private_segment_fixed_size 0
		.amdhsa_kernarg_size 24
		.amdhsa_user_sgpr_count 6
		.amdhsa_user_sgpr_private_segment_buffer 1
		.amdhsa_user_sgpr_dispatch_ptr 0
		.amdhsa_user_sgpr_queue_ptr 0
		.amdhsa_user_sgpr_kernarg_segment_ptr 1
		.amdhsa_user_sgpr_dispatch_id 0
		.amdhsa_user_sgpr_flat_scratch_init 0
		.amdhsa_user_sgpr_private_segment_size 0
		.amdhsa_uses_dynamic_stack 0
		.amdhsa_system_sgpr_private_segment_wavefront_offset 0
		.amdhsa_system_sgpr_workgroup_id_x 1
		.amdhsa_system_sgpr_workgroup_id_y 1
		.amdhsa_system_sgpr_workgroup_id_z 0
		.amdhsa_system_sgpr_workgroup_info 0
		.amdhsa_system_vgpr_workitem_id 1
		.amdhsa_next_free_vgpr 18
		.amdhsa_next_free_sgpr 10
		.amdhsa_reserve_vcc 1
		.amdhsa_reserve_flat_scratch 0
		.amdhsa_float_round_mode_32 0
		.amdhsa_float_round_mode_16_64 0
		.amdhsa_float_denorm_mode_32 3
		.amdhsa_float_denorm_mode_16_64 3
		.amdhsa_dx10_clamp 1
		.amdhsa_ieee_mode 1
		.amdhsa_fp16_overflow 0
		.amdhsa_exception_fp_ieee_invalid_op 0
		.amdhsa_exception_fp_denorm_src 0
		.amdhsa_exception_fp_ieee_div_zero 0
		.amdhsa_exception_fp_ieee_overflow 0
		.amdhsa_exception_fp_ieee_underflow 0
		.amdhsa_exception_fp_ieee_inexact 0
		.amdhsa_exception_int_div_zero 0
	.end_amdhsa_kernel
	.section	.text._ZN8rajaperf9polybench16poly_jacobi_2D_1ILm32ELm8EEEvPdS2_l,"axG",@progbits,_ZN8rajaperf9polybench16poly_jacobi_2D_1ILm32ELm8EEEvPdS2_l,comdat
.Lfunc_end0:
	.size	_ZN8rajaperf9polybench16poly_jacobi_2D_1ILm32ELm8EEEvPdS2_l, .Lfunc_end0-_ZN8rajaperf9polybench16poly_jacobi_2D_1ILm32ELm8EEEvPdS2_l
                                        ; -- End function
	.set _ZN8rajaperf9polybench16poly_jacobi_2D_1ILm32ELm8EEEvPdS2_l.num_vgpr, 18
	.set _ZN8rajaperf9polybench16poly_jacobi_2D_1ILm32ELm8EEEvPdS2_l.num_agpr, 0
	.set _ZN8rajaperf9polybench16poly_jacobi_2D_1ILm32ELm8EEEvPdS2_l.numbered_sgpr, 10
	.set _ZN8rajaperf9polybench16poly_jacobi_2D_1ILm32ELm8EEEvPdS2_l.num_named_barrier, 0
	.set _ZN8rajaperf9polybench16poly_jacobi_2D_1ILm32ELm8EEEvPdS2_l.private_seg_size, 0
	.set _ZN8rajaperf9polybench16poly_jacobi_2D_1ILm32ELm8EEEvPdS2_l.uses_vcc, 1
	.set _ZN8rajaperf9polybench16poly_jacobi_2D_1ILm32ELm8EEEvPdS2_l.uses_flat_scratch, 0
	.set _ZN8rajaperf9polybench16poly_jacobi_2D_1ILm32ELm8EEEvPdS2_l.has_dyn_sized_stack, 0
	.set _ZN8rajaperf9polybench16poly_jacobi_2D_1ILm32ELm8EEEvPdS2_l.has_recursion, 0
	.set _ZN8rajaperf9polybench16poly_jacobi_2D_1ILm32ELm8EEEvPdS2_l.has_indirect_call, 0
	.section	.AMDGPU.csdata,"",@progbits
; Kernel info:
; codeLenInByte = 384
; TotalNumSgprs: 14
; NumVgprs: 18
; ScratchSize: 0
; MemoryBound: 0
; FloatMode: 240
; IeeeMode: 1
; LDSByteSize: 0 bytes/workgroup (compile time only)
; SGPRBlocks: 1
; VGPRBlocks: 4
; NumSGPRsForWavesPerEU: 14
; NumVGPRsForWavesPerEU: 18
; Occupancy: 10
; WaveLimiterHint : 0
; COMPUTE_PGM_RSRC2:SCRATCH_EN: 0
; COMPUTE_PGM_RSRC2:USER_SGPR: 6
; COMPUTE_PGM_RSRC2:TRAP_HANDLER: 0
; COMPUTE_PGM_RSRC2:TGID_X_EN: 1
; COMPUTE_PGM_RSRC2:TGID_Y_EN: 1
; COMPUTE_PGM_RSRC2:TGID_Z_EN: 0
; COMPUTE_PGM_RSRC2:TIDIG_COMP_CNT: 1
	.section	.text._ZN8rajaperf9polybench16poly_jacobi_2D_2ILm32ELm8EEEvPdS2_l,"axG",@progbits,_ZN8rajaperf9polybench16poly_jacobi_2D_2ILm32ELm8EEEvPdS2_l,comdat
	.protected	_ZN8rajaperf9polybench16poly_jacobi_2D_2ILm32ELm8EEEvPdS2_l ; -- Begin function _ZN8rajaperf9polybench16poly_jacobi_2D_2ILm32ELm8EEEvPdS2_l
	.globl	_ZN8rajaperf9polybench16poly_jacobi_2D_2ILm32ELm8EEEvPdS2_l
	.p2align	8
	.type	_ZN8rajaperf9polybench16poly_jacobi_2D_2ILm32ELm8EEEvPdS2_l,@function
_ZN8rajaperf9polybench16poly_jacobi_2D_2ILm32ELm8EEEvPdS2_l: ; @_ZN8rajaperf9polybench16poly_jacobi_2D_2ILm32ELm8EEEvPdS2_l
; %bb.0:
	s_load_dwordx2 s[8:9], s[4:5], 0x10
	s_mov_b32 s0, s7
	s_mov_b32 s1, 0
	s_lshl_b64 s[2:3], s[0:1], 3
	v_add_u32_e32 v1, 1, v1
	v_mov_b32_e32 v2, s3
	v_add_co_u32_e32 v1, vcc, s2, v1
	s_mov_b32 s7, s1
	v_addc_co_u32_e32 v2, vcc, 0, v2, vcc
	s_lshl_b64 s[6:7], s[6:7], 5
	v_add_u32_e32 v3, 1, v0
	v_mov_b32_e32 v4, s7
	v_add_co_u32_e32 v3, vcc, s6, v3
	s_waitcnt lgkmcnt(0)
	s_add_u32 s0, s8, -1
	v_addc_co_u32_e32 v4, vcc, 0, v4, vcc
	s_addc_u32 s1, s9, -1
	v_cmp_gt_i64_e32 vcc, s[0:1], v[1:2]
	v_cmp_gt_i64_e64 s[0:1], s[0:1], v[3:4]
	s_and_b64 s[0:1], vcc, s[0:1]
	s_and_saveexec_b64 s[2:3], s[0:1]
	s_cbranch_execz .LBB1_2
; %bb.1:
	v_mad_u64_u32 v[4:5], s[0:1], v1, s8, 0
	v_mul_lo_u32 v2, v2, s8
	v_mul_lo_u32 v3, v1, s9
	s_load_dwordx4 s[0:3], s[4:5], 0x0
	v_mov_b32_e32 v1, s7
	v_add_co_u32_e32 v0, vcc, s6, v0
	v_addc_co_u32_e32 v1, vcc, 0, v1, vcc
	v_lshlrev_b64 v[6:7], 3, v[0:1]
	v_add3_u32 v5, v5, v3, v2
	s_waitcnt lgkmcnt(0)
	v_mov_b32_e32 v0, s3
	v_add_co_u32_e32 v14, vcc, s2, v6
	v_lshlrev_b64 v[8:9], 3, v[4:5]
	v_addc_co_u32_e32 v15, vcc, v0, v7, vcc
	v_add_co_u32_e32 v10, vcc, v14, v8
	v_addc_co_u32_e32 v11, vcc, v15, v9, vcc
	global_load_dwordx4 v[0:3], v[10:11], off
	global_load_dwordx2 v[12:13], v[10:11], off offset:16
	v_mov_b32_e32 v16, s9
	v_add_co_u32_e32 v17, vcc, s8, v4
	v_addc_co_u32_e32 v16, vcc, v5, v16, vcc
	s_lshl_b64 s[2:3], s[8:9], 3
	v_mov_b32_e32 v5, s3
	v_add_co_u32_e32 v4, vcc, s2, v10
	v_addc_co_u32_e32 v5, vcc, v11, v5, vcc
	global_load_dwordx2 v[4:5], v[4:5], off offset:8
	s_lshl_b64 s[2:3], s[8:9], 1
	v_mov_b32_e32 v11, s3
	v_subrev_co_u32_e32 v10, vcc, s2, v17
	v_subb_co_u32_e32 v11, vcc, v16, v11, vcc
	v_lshlrev_b64 v[10:11], 3, v[10:11]
	s_mov_b32 s2, 0x9999999a
	v_add_co_u32_e32 v10, vcc, v14, v10
	v_addc_co_u32_e32 v11, vcc, v15, v11, vcc
	global_load_dwordx2 v[10:11], v[10:11], off offset:8
	s_mov_b32 s3, 0x3fc99999
	s_waitcnt vmcnt(3)
	v_add_f64 v[0:1], v[2:3], v[0:1]
	v_mov_b32_e32 v2, s1
	v_add_co_u32_e32 v3, vcc, s0, v8
	s_waitcnt vmcnt(2)
	v_add_f64 v[0:1], v[0:1], v[12:13]
	s_waitcnt vmcnt(1)
	v_add_f64 v[0:1], v[0:1], v[4:5]
	v_addc_co_u32_e32 v4, vcc, v2, v9, vcc
	v_add_co_u32_e32 v2, vcc, v3, v6
	v_addc_co_u32_e32 v3, vcc, v4, v7, vcc
	s_waitcnt vmcnt(0)
	v_add_f64 v[0:1], v[0:1], v[10:11]
	v_mul_f64 v[0:1], v[0:1], s[2:3]
	global_store_dwordx2 v[2:3], v[0:1], off offset:8
.LBB1_2:
	s_endpgm
	.section	.rodata,"a",@progbits
	.p2align	6, 0x0
	.amdhsa_kernel _ZN8rajaperf9polybench16poly_jacobi_2D_2ILm32ELm8EEEvPdS2_l
		.amdhsa_group_segment_fixed_size 0
		.amdhsa_private_segment_fixed_size 0
		.amdhsa_kernarg_size 24
		.amdhsa_user_sgpr_count 6
		.amdhsa_user_sgpr_private_segment_buffer 1
		.amdhsa_user_sgpr_dispatch_ptr 0
		.amdhsa_user_sgpr_queue_ptr 0
		.amdhsa_user_sgpr_kernarg_segment_ptr 1
		.amdhsa_user_sgpr_dispatch_id 0
		.amdhsa_user_sgpr_flat_scratch_init 0
		.amdhsa_user_sgpr_private_segment_size 0
		.amdhsa_uses_dynamic_stack 0
		.amdhsa_system_sgpr_private_segment_wavefront_offset 0
		.amdhsa_system_sgpr_workgroup_id_x 1
		.amdhsa_system_sgpr_workgroup_id_y 1
		.amdhsa_system_sgpr_workgroup_id_z 0
		.amdhsa_system_sgpr_workgroup_info 0
		.amdhsa_system_vgpr_workitem_id 1
		.amdhsa_next_free_vgpr 18
		.amdhsa_next_free_sgpr 10
		.amdhsa_reserve_vcc 1
		.amdhsa_reserve_flat_scratch 0
		.amdhsa_float_round_mode_32 0
		.amdhsa_float_round_mode_16_64 0
		.amdhsa_float_denorm_mode_32 3
		.amdhsa_float_denorm_mode_16_64 3
		.amdhsa_dx10_clamp 1
		.amdhsa_ieee_mode 1
		.amdhsa_fp16_overflow 0
		.amdhsa_exception_fp_ieee_invalid_op 0
		.amdhsa_exception_fp_denorm_src 0
		.amdhsa_exception_fp_ieee_div_zero 0
		.amdhsa_exception_fp_ieee_overflow 0
		.amdhsa_exception_fp_ieee_underflow 0
		.amdhsa_exception_fp_ieee_inexact 0
		.amdhsa_exception_int_div_zero 0
	.end_amdhsa_kernel
	.section	.text._ZN8rajaperf9polybench16poly_jacobi_2D_2ILm32ELm8EEEvPdS2_l,"axG",@progbits,_ZN8rajaperf9polybench16poly_jacobi_2D_2ILm32ELm8EEEvPdS2_l,comdat
.Lfunc_end1:
	.size	_ZN8rajaperf9polybench16poly_jacobi_2D_2ILm32ELm8EEEvPdS2_l, .Lfunc_end1-_ZN8rajaperf9polybench16poly_jacobi_2D_2ILm32ELm8EEEvPdS2_l
                                        ; -- End function
	.set _ZN8rajaperf9polybench16poly_jacobi_2D_2ILm32ELm8EEEvPdS2_l.num_vgpr, 18
	.set _ZN8rajaperf9polybench16poly_jacobi_2D_2ILm32ELm8EEEvPdS2_l.num_agpr, 0
	.set _ZN8rajaperf9polybench16poly_jacobi_2D_2ILm32ELm8EEEvPdS2_l.numbered_sgpr, 10
	.set _ZN8rajaperf9polybench16poly_jacobi_2D_2ILm32ELm8EEEvPdS2_l.num_named_barrier, 0
	.set _ZN8rajaperf9polybench16poly_jacobi_2D_2ILm32ELm8EEEvPdS2_l.private_seg_size, 0
	.set _ZN8rajaperf9polybench16poly_jacobi_2D_2ILm32ELm8EEEvPdS2_l.uses_vcc, 1
	.set _ZN8rajaperf9polybench16poly_jacobi_2D_2ILm32ELm8EEEvPdS2_l.uses_flat_scratch, 0
	.set _ZN8rajaperf9polybench16poly_jacobi_2D_2ILm32ELm8EEEvPdS2_l.has_dyn_sized_stack, 0
	.set _ZN8rajaperf9polybench16poly_jacobi_2D_2ILm32ELm8EEEvPdS2_l.has_recursion, 0
	.set _ZN8rajaperf9polybench16poly_jacobi_2D_2ILm32ELm8EEEvPdS2_l.has_indirect_call, 0
	.section	.AMDGPU.csdata,"",@progbits
; Kernel info:
; codeLenInByte = 384
; TotalNumSgprs: 14
; NumVgprs: 18
; ScratchSize: 0
; MemoryBound: 0
; FloatMode: 240
; IeeeMode: 1
; LDSByteSize: 0 bytes/workgroup (compile time only)
; SGPRBlocks: 1
; VGPRBlocks: 4
; NumSGPRsForWavesPerEU: 14
; NumVGPRsForWavesPerEU: 18
; Occupancy: 10
; WaveLimiterHint : 0
; COMPUTE_PGM_RSRC2:SCRATCH_EN: 0
; COMPUTE_PGM_RSRC2:USER_SGPR: 6
; COMPUTE_PGM_RSRC2:TRAP_HANDLER: 0
; COMPUTE_PGM_RSRC2:TGID_X_EN: 1
; COMPUTE_PGM_RSRC2:TGID_Y_EN: 1
; COMPUTE_PGM_RSRC2:TGID_Z_EN: 0
; COMPUTE_PGM_RSRC2:TIDIG_COMP_CNT: 1
	.section	.text._ZN8rajaperf9polybench18poly_jacobi_2D_lamILm32ELm8EZNS0_19POLYBENCH_JACOBI_2D17runHipVariantImplILm256EEEvNS_9VariantIDEEUlllE_EEvlT1_,"axG",@progbits,_ZN8rajaperf9polybench18poly_jacobi_2D_lamILm32ELm8EZNS0_19POLYBENCH_JACOBI_2D17runHipVariantImplILm256EEEvNS_9VariantIDEEUlllE_EEvlT1_,comdat
	.protected	_ZN8rajaperf9polybench18poly_jacobi_2D_lamILm32ELm8EZNS0_19POLYBENCH_JACOBI_2D17runHipVariantImplILm256EEEvNS_9VariantIDEEUlllE_EEvlT1_ ; -- Begin function _ZN8rajaperf9polybench18poly_jacobi_2D_lamILm32ELm8EZNS0_19POLYBENCH_JACOBI_2D17runHipVariantImplILm256EEEvNS_9VariantIDEEUlllE_EEvlT1_
	.globl	_ZN8rajaperf9polybench18poly_jacobi_2D_lamILm32ELm8EZNS0_19POLYBENCH_JACOBI_2D17runHipVariantImplILm256EEEvNS_9VariantIDEEUlllE_EEvlT1_
	.p2align	8
	.type	_ZN8rajaperf9polybench18poly_jacobi_2D_lamILm32ELm8EZNS0_19POLYBENCH_JACOBI_2D17runHipVariantImplILm256EEEvNS_9VariantIDEEUlllE_EEvlT1_,@function
_ZN8rajaperf9polybench18poly_jacobi_2D_lamILm32ELm8EZNS0_19POLYBENCH_JACOBI_2D17runHipVariantImplILm256EEEvNS_9VariantIDEEUlllE_EEvlT1_: ; @_ZN8rajaperf9polybench18poly_jacobi_2D_lamILm32ELm8EZNS0_19POLYBENCH_JACOBI_2D17runHipVariantImplILm256EEEvNS_9VariantIDEEUlllE_EEvlT1_
; %bb.0:
	s_load_dwordx2 s[2:3], s[4:5], 0x0
	s_mov_b32 s0, s7
	s_mov_b32 s1, 0
	s_lshl_b64 s[8:9], s[0:1], 3
	v_add_u32_e32 v1, 1, v1
	v_mov_b32_e32 v2, s9
	v_add_co_u32_e32 v1, vcc, s8, v1
	s_mov_b32 s7, s1
	v_addc_co_u32_e32 v2, vcc, 0, v2, vcc
	s_lshl_b64 s[6:7], s[6:7], 5
	v_add_u32_e32 v3, 1, v0
	v_mov_b32_e32 v4, s7
	v_add_co_u32_e32 v3, vcc, s6, v3
	s_waitcnt lgkmcnt(0)
	s_add_u32 s0, s2, -1
	v_addc_co_u32_e32 v4, vcc, 0, v4, vcc
	s_addc_u32 s1, s3, -1
	v_cmp_gt_i64_e32 vcc, s[0:1], v[1:2]
	v_cmp_gt_i64_e64 s[0:1], s[0:1], v[3:4]
	s_and_b64 s[0:1], vcc, s[0:1]
	s_and_saveexec_b64 s[2:3], s[0:1]
	s_cbranch_execz .LBB2_2
; %bb.1:
	s_load_dwordx4 s[0:3], s[4:5], 0x8
	s_load_dwordx2 s[8:9], s[4:5], 0x18
	v_add_co_u32_e32 v0, vcc, s6, v0
	s_waitcnt lgkmcnt(0)
	v_mul_lo_u32 v3, s3, v1
	v_mul_lo_u32 v2, s2, v2
	v_mad_u64_u32 v[4:5], s[4:5], s2, v1, 0
	v_mov_b32_e32 v1, s7
	v_addc_co_u32_e32 v1, vcc, 0, v1, vcc
	v_lshlrev_b64 v[6:7], 3, v[0:1]
	v_add3_u32 v5, v5, v2, v3
	v_mov_b32_e32 v0, s9
	v_add_co_u32_e32 v14, vcc, s8, v6
	v_lshlrev_b64 v[8:9], 3, v[4:5]
	v_addc_co_u32_e32 v15, vcc, v0, v7, vcc
	v_add_co_u32_e32 v10, vcc, v14, v8
	v_addc_co_u32_e32 v11, vcc, v15, v9, vcc
	global_load_dwordx4 v[0:3], v[10:11], off
	global_load_dwordx2 v[12:13], v[10:11], off offset:16
	v_mov_b32_e32 v16, s3
	v_add_co_u32_e32 v17, vcc, s2, v4
	v_addc_co_u32_e32 v16, vcc, v5, v16, vcc
	s_lshl_b64 s[4:5], s[2:3], 3
	v_mov_b32_e32 v5, s5
	v_add_co_u32_e32 v4, vcc, s4, v10
	v_addc_co_u32_e32 v5, vcc, v11, v5, vcc
	global_load_dwordx2 v[4:5], v[4:5], off offset:8
	s_lshl_b64 s[2:3], s[2:3], 1
	v_mov_b32_e32 v11, s3
	v_subrev_co_u32_e32 v10, vcc, s2, v17
	v_subb_co_u32_e32 v11, vcc, v16, v11, vcc
	v_lshlrev_b64 v[10:11], 3, v[10:11]
	s_mov_b32 s2, 0x9999999a
	v_add_co_u32_e32 v10, vcc, v14, v10
	v_addc_co_u32_e32 v11, vcc, v15, v11, vcc
	global_load_dwordx2 v[10:11], v[10:11], off offset:8
	s_mov_b32 s3, 0x3fc99999
	s_waitcnt vmcnt(3)
	v_add_f64 v[0:1], v[2:3], v[0:1]
	v_mov_b32_e32 v2, s1
	v_add_co_u32_e32 v3, vcc, s0, v8
	s_waitcnt vmcnt(2)
	v_add_f64 v[0:1], v[0:1], v[12:13]
	s_waitcnt vmcnt(1)
	v_add_f64 v[0:1], v[0:1], v[4:5]
	v_addc_co_u32_e32 v4, vcc, v2, v9, vcc
	v_add_co_u32_e32 v2, vcc, v3, v6
	v_addc_co_u32_e32 v3, vcc, v4, v7, vcc
	s_waitcnt vmcnt(0)
	v_add_f64 v[0:1], v[0:1], v[10:11]
	v_mul_f64 v[0:1], v[0:1], s[2:3]
	global_store_dwordx2 v[2:3], v[0:1], off offset:8
.LBB2_2:
	s_endpgm
	.section	.rodata,"a",@progbits
	.p2align	6, 0x0
	.amdhsa_kernel _ZN8rajaperf9polybench18poly_jacobi_2D_lamILm32ELm8EZNS0_19POLYBENCH_JACOBI_2D17runHipVariantImplILm256EEEvNS_9VariantIDEEUlllE_EEvlT1_
		.amdhsa_group_segment_fixed_size 0
		.amdhsa_private_segment_fixed_size 0
		.amdhsa_kernarg_size 32
		.amdhsa_user_sgpr_count 6
		.amdhsa_user_sgpr_private_segment_buffer 1
		.amdhsa_user_sgpr_dispatch_ptr 0
		.amdhsa_user_sgpr_queue_ptr 0
		.amdhsa_user_sgpr_kernarg_segment_ptr 1
		.amdhsa_user_sgpr_dispatch_id 0
		.amdhsa_user_sgpr_flat_scratch_init 0
		.amdhsa_user_sgpr_private_segment_size 0
		.amdhsa_uses_dynamic_stack 0
		.amdhsa_system_sgpr_private_segment_wavefront_offset 0
		.amdhsa_system_sgpr_workgroup_id_x 1
		.amdhsa_system_sgpr_workgroup_id_y 1
		.amdhsa_system_sgpr_workgroup_id_z 0
		.amdhsa_system_sgpr_workgroup_info 0
		.amdhsa_system_vgpr_workitem_id 1
		.amdhsa_next_free_vgpr 18
		.amdhsa_next_free_sgpr 10
		.amdhsa_reserve_vcc 1
		.amdhsa_reserve_flat_scratch 0
		.amdhsa_float_round_mode_32 0
		.amdhsa_float_round_mode_16_64 0
		.amdhsa_float_denorm_mode_32 3
		.amdhsa_float_denorm_mode_16_64 3
		.amdhsa_dx10_clamp 1
		.amdhsa_ieee_mode 1
		.amdhsa_fp16_overflow 0
		.amdhsa_exception_fp_ieee_invalid_op 0
		.amdhsa_exception_fp_denorm_src 0
		.amdhsa_exception_fp_ieee_div_zero 0
		.amdhsa_exception_fp_ieee_overflow 0
		.amdhsa_exception_fp_ieee_underflow 0
		.amdhsa_exception_fp_ieee_inexact 0
		.amdhsa_exception_int_div_zero 0
	.end_amdhsa_kernel
	.section	.text._ZN8rajaperf9polybench18poly_jacobi_2D_lamILm32ELm8EZNS0_19POLYBENCH_JACOBI_2D17runHipVariantImplILm256EEEvNS_9VariantIDEEUlllE_EEvlT1_,"axG",@progbits,_ZN8rajaperf9polybench18poly_jacobi_2D_lamILm32ELm8EZNS0_19POLYBENCH_JACOBI_2D17runHipVariantImplILm256EEEvNS_9VariantIDEEUlllE_EEvlT1_,comdat
.Lfunc_end2:
	.size	_ZN8rajaperf9polybench18poly_jacobi_2D_lamILm32ELm8EZNS0_19POLYBENCH_JACOBI_2D17runHipVariantImplILm256EEEvNS_9VariantIDEEUlllE_EEvlT1_, .Lfunc_end2-_ZN8rajaperf9polybench18poly_jacobi_2D_lamILm32ELm8EZNS0_19POLYBENCH_JACOBI_2D17runHipVariantImplILm256EEEvNS_9VariantIDEEUlllE_EEvlT1_
                                        ; -- End function
	.set _ZN8rajaperf9polybench18poly_jacobi_2D_lamILm32ELm8EZNS0_19POLYBENCH_JACOBI_2D17runHipVariantImplILm256EEEvNS_9VariantIDEEUlllE_EEvlT1_.num_vgpr, 18
	.set _ZN8rajaperf9polybench18poly_jacobi_2D_lamILm32ELm8EZNS0_19POLYBENCH_JACOBI_2D17runHipVariantImplILm256EEEvNS_9VariantIDEEUlllE_EEvlT1_.num_agpr, 0
	.set _ZN8rajaperf9polybench18poly_jacobi_2D_lamILm32ELm8EZNS0_19POLYBENCH_JACOBI_2D17runHipVariantImplILm256EEEvNS_9VariantIDEEUlllE_EEvlT1_.numbered_sgpr, 10
	.set _ZN8rajaperf9polybench18poly_jacobi_2D_lamILm32ELm8EZNS0_19POLYBENCH_JACOBI_2D17runHipVariantImplILm256EEEvNS_9VariantIDEEUlllE_EEvlT1_.num_named_barrier, 0
	.set _ZN8rajaperf9polybench18poly_jacobi_2D_lamILm32ELm8EZNS0_19POLYBENCH_JACOBI_2D17runHipVariantImplILm256EEEvNS_9VariantIDEEUlllE_EEvlT1_.private_seg_size, 0
	.set _ZN8rajaperf9polybench18poly_jacobi_2D_lamILm32ELm8EZNS0_19POLYBENCH_JACOBI_2D17runHipVariantImplILm256EEEvNS_9VariantIDEEUlllE_EEvlT1_.uses_vcc, 1
	.set _ZN8rajaperf9polybench18poly_jacobi_2D_lamILm32ELm8EZNS0_19POLYBENCH_JACOBI_2D17runHipVariantImplILm256EEEvNS_9VariantIDEEUlllE_EEvlT1_.uses_flat_scratch, 0
	.set _ZN8rajaperf9polybench18poly_jacobi_2D_lamILm32ELm8EZNS0_19POLYBENCH_JACOBI_2D17runHipVariantImplILm256EEEvNS_9VariantIDEEUlllE_EEvlT1_.has_dyn_sized_stack, 0
	.set _ZN8rajaperf9polybench18poly_jacobi_2D_lamILm32ELm8EZNS0_19POLYBENCH_JACOBI_2D17runHipVariantImplILm256EEEvNS_9VariantIDEEUlllE_EEvlT1_.has_recursion, 0
	.set _ZN8rajaperf9polybench18poly_jacobi_2D_lamILm32ELm8EZNS0_19POLYBENCH_JACOBI_2D17runHipVariantImplILm256EEEvNS_9VariantIDEEUlllE_EEvlT1_.has_indirect_call, 0
	.section	.AMDGPU.csdata,"",@progbits
; Kernel info:
; codeLenInByte = 392
; TotalNumSgprs: 14
; NumVgprs: 18
; ScratchSize: 0
; MemoryBound: 0
; FloatMode: 240
; IeeeMode: 1
; LDSByteSize: 0 bytes/workgroup (compile time only)
; SGPRBlocks: 1
; VGPRBlocks: 4
; NumSGPRsForWavesPerEU: 14
; NumVGPRsForWavesPerEU: 18
; Occupancy: 10
; WaveLimiterHint : 0
; COMPUTE_PGM_RSRC2:SCRATCH_EN: 0
; COMPUTE_PGM_RSRC2:USER_SGPR: 6
; COMPUTE_PGM_RSRC2:TRAP_HANDLER: 0
; COMPUTE_PGM_RSRC2:TGID_X_EN: 1
; COMPUTE_PGM_RSRC2:TGID_Y_EN: 1
; COMPUTE_PGM_RSRC2:TGID_Z_EN: 0
; COMPUTE_PGM_RSRC2:TIDIG_COMP_CNT: 1
	.section	.text._ZN8rajaperf9polybench18poly_jacobi_2D_lamILm32ELm8EZNS0_19POLYBENCH_JACOBI_2D17runHipVariantImplILm256EEEvNS_9VariantIDEEUlllE0_EEvlT1_,"axG",@progbits,_ZN8rajaperf9polybench18poly_jacobi_2D_lamILm32ELm8EZNS0_19POLYBENCH_JACOBI_2D17runHipVariantImplILm256EEEvNS_9VariantIDEEUlllE0_EEvlT1_,comdat
	.protected	_ZN8rajaperf9polybench18poly_jacobi_2D_lamILm32ELm8EZNS0_19POLYBENCH_JACOBI_2D17runHipVariantImplILm256EEEvNS_9VariantIDEEUlllE0_EEvlT1_ ; -- Begin function _ZN8rajaperf9polybench18poly_jacobi_2D_lamILm32ELm8EZNS0_19POLYBENCH_JACOBI_2D17runHipVariantImplILm256EEEvNS_9VariantIDEEUlllE0_EEvlT1_
	.globl	_ZN8rajaperf9polybench18poly_jacobi_2D_lamILm32ELm8EZNS0_19POLYBENCH_JACOBI_2D17runHipVariantImplILm256EEEvNS_9VariantIDEEUlllE0_EEvlT1_
	.p2align	8
	.type	_ZN8rajaperf9polybench18poly_jacobi_2D_lamILm32ELm8EZNS0_19POLYBENCH_JACOBI_2D17runHipVariantImplILm256EEEvNS_9VariantIDEEUlllE0_EEvlT1_,@function
_ZN8rajaperf9polybench18poly_jacobi_2D_lamILm32ELm8EZNS0_19POLYBENCH_JACOBI_2D17runHipVariantImplILm256EEEvNS_9VariantIDEEUlllE0_EEvlT1_: ; @_ZN8rajaperf9polybench18poly_jacobi_2D_lamILm32ELm8EZNS0_19POLYBENCH_JACOBI_2D17runHipVariantImplILm256EEEvNS_9VariantIDEEUlllE0_EEvlT1_
; %bb.0:
	s_load_dwordx2 s[2:3], s[4:5], 0x0
	s_mov_b32 s0, s7
	s_mov_b32 s1, 0
	s_lshl_b64 s[8:9], s[0:1], 3
	v_add_u32_e32 v1, 1, v1
	v_mov_b32_e32 v2, s9
	v_add_co_u32_e32 v1, vcc, s8, v1
	s_mov_b32 s7, s1
	v_addc_co_u32_e32 v2, vcc, 0, v2, vcc
	s_lshl_b64 s[6:7], s[6:7], 5
	v_add_u32_e32 v3, 1, v0
	v_mov_b32_e32 v4, s7
	v_add_co_u32_e32 v3, vcc, s6, v3
	s_waitcnt lgkmcnt(0)
	s_add_u32 s0, s2, -1
	v_addc_co_u32_e32 v4, vcc, 0, v4, vcc
	s_addc_u32 s1, s3, -1
	v_cmp_gt_i64_e32 vcc, s[0:1], v[1:2]
	v_cmp_gt_i64_e64 s[0:1], s[0:1], v[3:4]
	s_and_b64 s[0:1], vcc, s[0:1]
	s_and_saveexec_b64 s[2:3], s[0:1]
	s_cbranch_execz .LBB3_2
; %bb.1:
	s_load_dwordx4 s[0:3], s[4:5], 0x8
	s_load_dwordx2 s[8:9], s[4:5], 0x18
	v_add_co_u32_e32 v0, vcc, s6, v0
	s_waitcnt lgkmcnt(0)
	v_mul_lo_u32 v3, s3, v1
	v_mul_lo_u32 v2, s2, v2
	v_mad_u64_u32 v[4:5], s[4:5], s2, v1, 0
	v_mov_b32_e32 v1, s7
	v_addc_co_u32_e32 v1, vcc, 0, v1, vcc
	v_lshlrev_b64 v[6:7], 3, v[0:1]
	v_add3_u32 v5, v5, v2, v3
	v_mov_b32_e32 v0, s9
	v_add_co_u32_e32 v14, vcc, s8, v6
	v_lshlrev_b64 v[8:9], 3, v[4:5]
	v_addc_co_u32_e32 v15, vcc, v0, v7, vcc
	v_add_co_u32_e32 v10, vcc, v14, v8
	v_addc_co_u32_e32 v11, vcc, v15, v9, vcc
	global_load_dwordx4 v[0:3], v[10:11], off
	global_load_dwordx2 v[12:13], v[10:11], off offset:16
	v_mov_b32_e32 v16, s3
	v_add_co_u32_e32 v17, vcc, s2, v4
	v_addc_co_u32_e32 v16, vcc, v5, v16, vcc
	s_lshl_b64 s[4:5], s[2:3], 3
	v_mov_b32_e32 v5, s5
	v_add_co_u32_e32 v4, vcc, s4, v10
	v_addc_co_u32_e32 v5, vcc, v11, v5, vcc
	global_load_dwordx2 v[4:5], v[4:5], off offset:8
	s_lshl_b64 s[2:3], s[2:3], 1
	v_mov_b32_e32 v11, s3
	v_subrev_co_u32_e32 v10, vcc, s2, v17
	v_subb_co_u32_e32 v11, vcc, v16, v11, vcc
	v_lshlrev_b64 v[10:11], 3, v[10:11]
	s_mov_b32 s2, 0x9999999a
	v_add_co_u32_e32 v10, vcc, v14, v10
	v_addc_co_u32_e32 v11, vcc, v15, v11, vcc
	global_load_dwordx2 v[10:11], v[10:11], off offset:8
	s_mov_b32 s3, 0x3fc99999
	s_waitcnt vmcnt(3)
	v_add_f64 v[0:1], v[2:3], v[0:1]
	v_mov_b32_e32 v2, s1
	v_add_co_u32_e32 v3, vcc, s0, v8
	s_waitcnt vmcnt(2)
	v_add_f64 v[0:1], v[0:1], v[12:13]
	s_waitcnt vmcnt(1)
	v_add_f64 v[0:1], v[0:1], v[4:5]
	v_addc_co_u32_e32 v4, vcc, v2, v9, vcc
	v_add_co_u32_e32 v2, vcc, v3, v6
	v_addc_co_u32_e32 v3, vcc, v4, v7, vcc
	s_waitcnt vmcnt(0)
	v_add_f64 v[0:1], v[0:1], v[10:11]
	v_mul_f64 v[0:1], v[0:1], s[2:3]
	global_store_dwordx2 v[2:3], v[0:1], off offset:8
.LBB3_2:
	s_endpgm
	.section	.rodata,"a",@progbits
	.p2align	6, 0x0
	.amdhsa_kernel _ZN8rajaperf9polybench18poly_jacobi_2D_lamILm32ELm8EZNS0_19POLYBENCH_JACOBI_2D17runHipVariantImplILm256EEEvNS_9VariantIDEEUlllE0_EEvlT1_
		.amdhsa_group_segment_fixed_size 0
		.amdhsa_private_segment_fixed_size 0
		.amdhsa_kernarg_size 32
		.amdhsa_user_sgpr_count 6
		.amdhsa_user_sgpr_private_segment_buffer 1
		.amdhsa_user_sgpr_dispatch_ptr 0
		.amdhsa_user_sgpr_queue_ptr 0
		.amdhsa_user_sgpr_kernarg_segment_ptr 1
		.amdhsa_user_sgpr_dispatch_id 0
		.amdhsa_user_sgpr_flat_scratch_init 0
		.amdhsa_user_sgpr_private_segment_size 0
		.amdhsa_uses_dynamic_stack 0
		.amdhsa_system_sgpr_private_segment_wavefront_offset 0
		.amdhsa_system_sgpr_workgroup_id_x 1
		.amdhsa_system_sgpr_workgroup_id_y 1
		.amdhsa_system_sgpr_workgroup_id_z 0
		.amdhsa_system_sgpr_workgroup_info 0
		.amdhsa_system_vgpr_workitem_id 1
		.amdhsa_next_free_vgpr 18
		.amdhsa_next_free_sgpr 10
		.amdhsa_reserve_vcc 1
		.amdhsa_reserve_flat_scratch 0
		.amdhsa_float_round_mode_32 0
		.amdhsa_float_round_mode_16_64 0
		.amdhsa_float_denorm_mode_32 3
		.amdhsa_float_denorm_mode_16_64 3
		.amdhsa_dx10_clamp 1
		.amdhsa_ieee_mode 1
		.amdhsa_fp16_overflow 0
		.amdhsa_exception_fp_ieee_invalid_op 0
		.amdhsa_exception_fp_denorm_src 0
		.amdhsa_exception_fp_ieee_div_zero 0
		.amdhsa_exception_fp_ieee_overflow 0
		.amdhsa_exception_fp_ieee_underflow 0
		.amdhsa_exception_fp_ieee_inexact 0
		.amdhsa_exception_int_div_zero 0
	.end_amdhsa_kernel
	.section	.text._ZN8rajaperf9polybench18poly_jacobi_2D_lamILm32ELm8EZNS0_19POLYBENCH_JACOBI_2D17runHipVariantImplILm256EEEvNS_9VariantIDEEUlllE0_EEvlT1_,"axG",@progbits,_ZN8rajaperf9polybench18poly_jacobi_2D_lamILm32ELm8EZNS0_19POLYBENCH_JACOBI_2D17runHipVariantImplILm256EEEvNS_9VariantIDEEUlllE0_EEvlT1_,comdat
.Lfunc_end3:
	.size	_ZN8rajaperf9polybench18poly_jacobi_2D_lamILm32ELm8EZNS0_19POLYBENCH_JACOBI_2D17runHipVariantImplILm256EEEvNS_9VariantIDEEUlllE0_EEvlT1_, .Lfunc_end3-_ZN8rajaperf9polybench18poly_jacobi_2D_lamILm32ELm8EZNS0_19POLYBENCH_JACOBI_2D17runHipVariantImplILm256EEEvNS_9VariantIDEEUlllE0_EEvlT1_
                                        ; -- End function
	.set _ZN8rajaperf9polybench18poly_jacobi_2D_lamILm32ELm8EZNS0_19POLYBENCH_JACOBI_2D17runHipVariantImplILm256EEEvNS_9VariantIDEEUlllE0_EEvlT1_.num_vgpr, 18
	.set _ZN8rajaperf9polybench18poly_jacobi_2D_lamILm32ELm8EZNS0_19POLYBENCH_JACOBI_2D17runHipVariantImplILm256EEEvNS_9VariantIDEEUlllE0_EEvlT1_.num_agpr, 0
	.set _ZN8rajaperf9polybench18poly_jacobi_2D_lamILm32ELm8EZNS0_19POLYBENCH_JACOBI_2D17runHipVariantImplILm256EEEvNS_9VariantIDEEUlllE0_EEvlT1_.numbered_sgpr, 10
	.set _ZN8rajaperf9polybench18poly_jacobi_2D_lamILm32ELm8EZNS0_19POLYBENCH_JACOBI_2D17runHipVariantImplILm256EEEvNS_9VariantIDEEUlllE0_EEvlT1_.num_named_barrier, 0
	.set _ZN8rajaperf9polybench18poly_jacobi_2D_lamILm32ELm8EZNS0_19POLYBENCH_JACOBI_2D17runHipVariantImplILm256EEEvNS_9VariantIDEEUlllE0_EEvlT1_.private_seg_size, 0
	.set _ZN8rajaperf9polybench18poly_jacobi_2D_lamILm32ELm8EZNS0_19POLYBENCH_JACOBI_2D17runHipVariantImplILm256EEEvNS_9VariantIDEEUlllE0_EEvlT1_.uses_vcc, 1
	.set _ZN8rajaperf9polybench18poly_jacobi_2D_lamILm32ELm8EZNS0_19POLYBENCH_JACOBI_2D17runHipVariantImplILm256EEEvNS_9VariantIDEEUlllE0_EEvlT1_.uses_flat_scratch, 0
	.set _ZN8rajaperf9polybench18poly_jacobi_2D_lamILm32ELm8EZNS0_19POLYBENCH_JACOBI_2D17runHipVariantImplILm256EEEvNS_9VariantIDEEUlllE0_EEvlT1_.has_dyn_sized_stack, 0
	.set _ZN8rajaperf9polybench18poly_jacobi_2D_lamILm32ELm8EZNS0_19POLYBENCH_JACOBI_2D17runHipVariantImplILm256EEEvNS_9VariantIDEEUlllE0_EEvlT1_.has_recursion, 0
	.set _ZN8rajaperf9polybench18poly_jacobi_2D_lamILm32ELm8EZNS0_19POLYBENCH_JACOBI_2D17runHipVariantImplILm256EEEvNS_9VariantIDEEUlllE0_EEvlT1_.has_indirect_call, 0
	.section	.AMDGPU.csdata,"",@progbits
; Kernel info:
; codeLenInByte = 392
; TotalNumSgprs: 14
; NumVgprs: 18
; ScratchSize: 0
; MemoryBound: 0
; FloatMode: 240
; IeeeMode: 1
; LDSByteSize: 0 bytes/workgroup (compile time only)
; SGPRBlocks: 1
; VGPRBlocks: 4
; NumSGPRsForWavesPerEU: 14
; NumVGPRsForWavesPerEU: 18
; Occupancy: 10
; WaveLimiterHint : 0
; COMPUTE_PGM_RSRC2:SCRATCH_EN: 0
; COMPUTE_PGM_RSRC2:USER_SGPR: 6
; COMPUTE_PGM_RSRC2:TRAP_HANDLER: 0
; COMPUTE_PGM_RSRC2:TGID_X_EN: 1
; COMPUTE_PGM_RSRC2:TGID_Y_EN: 1
; COMPUTE_PGM_RSRC2:TGID_Z_EN: 0
; COMPUTE_PGM_RSRC2:TIDIG_COMP_CNT: 1
	.section	.text._ZN4RAJA8internal22HipKernelLauncherFixedILi256ENS0_8LoopDataIN4camp5tupleIJNS_4SpanINS_9Iterators16numeric_iteratorIllPlEElEESA_EEENS4_IJEEENS3_9resources2v13HipEJZN8rajaperf9polybench19POLYBENCH_JACOBI_2D17runHipVariantImplILm256EEEvNSG_9VariantIDEEUlllE1_EEENS0_24HipStatementListExecutorISM_NS3_4listIJNS_9statement3ForILl0ENS_6policy3hip11hip_indexerINS_17iteration_mapping6DirectELNS_23kernel_sync_requirementE0EJNS_3hip11IndexGlobalILNS_9named_dimE1ELi8ELi0EEEEEEJNSQ_ILl1ENST_ISV_LSW_0EJNSY_ILSZ_0ELi32ELi0EEEEEEJNSP_6LambdaILl0EJEEEEEEEEEEEENS0_9LoopTypesINSO_IJvvEEES1A_EEEEEEvT0_,"axG",@progbits,_ZN4RAJA8internal22HipKernelLauncherFixedILi256ENS0_8LoopDataIN4camp5tupleIJNS_4SpanINS_9Iterators16numeric_iteratorIllPlEElEESA_EEENS4_IJEEENS3_9resources2v13HipEJZN8rajaperf9polybench19POLYBENCH_JACOBI_2D17runHipVariantImplILm256EEEvNSG_9VariantIDEEUlllE1_EEENS0_24HipStatementListExecutorISM_NS3_4listIJNS_9statement3ForILl0ENS_6policy3hip11hip_indexerINS_17iteration_mapping6DirectELNS_23kernel_sync_requirementE0EJNS_3hip11IndexGlobalILNS_9named_dimE1ELi8ELi0EEEEEEJNSQ_ILl1ENST_ISV_LSW_0EJNSY_ILSZ_0ELi32ELi0EEEEEEJNSP_6LambdaILl0EJEEEEEEEEEEEENS0_9LoopTypesINSO_IJvvEEES1A_EEEEEEvT0_,comdat
	.protected	_ZN4RAJA8internal22HipKernelLauncherFixedILi256ENS0_8LoopDataIN4camp5tupleIJNS_4SpanINS_9Iterators16numeric_iteratorIllPlEElEESA_EEENS4_IJEEENS3_9resources2v13HipEJZN8rajaperf9polybench19POLYBENCH_JACOBI_2D17runHipVariantImplILm256EEEvNSG_9VariantIDEEUlllE1_EEENS0_24HipStatementListExecutorISM_NS3_4listIJNS_9statement3ForILl0ENS_6policy3hip11hip_indexerINS_17iteration_mapping6DirectELNS_23kernel_sync_requirementE0EJNS_3hip11IndexGlobalILNS_9named_dimE1ELi8ELi0EEEEEEJNSQ_ILl1ENST_ISV_LSW_0EJNSY_ILSZ_0ELi32ELi0EEEEEEJNSP_6LambdaILl0EJEEEEEEEEEEEENS0_9LoopTypesINSO_IJvvEEES1A_EEEEEEvT0_ ; -- Begin function _ZN4RAJA8internal22HipKernelLauncherFixedILi256ENS0_8LoopDataIN4camp5tupleIJNS_4SpanINS_9Iterators16numeric_iteratorIllPlEElEESA_EEENS4_IJEEENS3_9resources2v13HipEJZN8rajaperf9polybench19POLYBENCH_JACOBI_2D17runHipVariantImplILm256EEEvNSG_9VariantIDEEUlllE1_EEENS0_24HipStatementListExecutorISM_NS3_4listIJNS_9statement3ForILl0ENS_6policy3hip11hip_indexerINS_17iteration_mapping6DirectELNS_23kernel_sync_requirementE0EJNS_3hip11IndexGlobalILNS_9named_dimE1ELi8ELi0EEEEEEJNSQ_ILl1ENST_ISV_LSW_0EJNSY_ILSZ_0ELi32ELi0EEEEEEJNSP_6LambdaILl0EJEEEEEEEEEEEENS0_9LoopTypesINSO_IJvvEEES1A_EEEEEEvT0_
	.globl	_ZN4RAJA8internal22HipKernelLauncherFixedILi256ENS0_8LoopDataIN4camp5tupleIJNS_4SpanINS_9Iterators16numeric_iteratorIllPlEElEESA_EEENS4_IJEEENS3_9resources2v13HipEJZN8rajaperf9polybench19POLYBENCH_JACOBI_2D17runHipVariantImplILm256EEEvNSG_9VariantIDEEUlllE1_EEENS0_24HipStatementListExecutorISM_NS3_4listIJNS_9statement3ForILl0ENS_6policy3hip11hip_indexerINS_17iteration_mapping6DirectELNS_23kernel_sync_requirementE0EJNS_3hip11IndexGlobalILNS_9named_dimE1ELi8ELi0EEEEEEJNSQ_ILl1ENST_ISV_LSW_0EJNSY_ILSZ_0ELi32ELi0EEEEEEJNSP_6LambdaILl0EJEEEEEEEEEEEENS0_9LoopTypesINSO_IJvvEEES1A_EEEEEEvT0_
	.p2align	8
	.type	_ZN4RAJA8internal22HipKernelLauncherFixedILi256ENS0_8LoopDataIN4camp5tupleIJNS_4SpanINS_9Iterators16numeric_iteratorIllPlEElEESA_EEENS4_IJEEENS3_9resources2v13HipEJZN8rajaperf9polybench19POLYBENCH_JACOBI_2D17runHipVariantImplILm256EEEvNSG_9VariantIDEEUlllE1_EEENS0_24HipStatementListExecutorISM_NS3_4listIJNS_9statement3ForILl0ENS_6policy3hip11hip_indexerINS_17iteration_mapping6DirectELNS_23kernel_sync_requirementE0EJNS_3hip11IndexGlobalILNS_9named_dimE1ELi8ELi0EEEEEEJNSQ_ILl1ENST_ISV_LSW_0EJNSY_ILSZ_0ELi32ELi0EEEEEEJNSP_6LambdaILl0EJEEEEEEEEEEEENS0_9LoopTypesINSO_IJvvEEES1A_EEEEEEvT0_,@function
_ZN4RAJA8internal22HipKernelLauncherFixedILi256ENS0_8LoopDataIN4camp5tupleIJNS_4SpanINS_9Iterators16numeric_iteratorIllPlEElEESA_EEENS4_IJEEENS3_9resources2v13HipEJZN8rajaperf9polybench19POLYBENCH_JACOBI_2D17runHipVariantImplILm256EEEvNSG_9VariantIDEEUlllE1_EEENS0_24HipStatementListExecutorISM_NS3_4listIJNS_9statement3ForILl0ENS_6policy3hip11hip_indexerINS_17iteration_mapping6DirectELNS_23kernel_sync_requirementE0EJNS_3hip11IndexGlobalILNS_9named_dimE1ELi8ELi0EEEEEEJNSQ_ILl1ENST_ISV_LSW_0EJNSY_ILSZ_0ELi32ELi0EEEEEEJNSP_6LambdaILl0EJEEEEEEEEEEEENS0_9LoopTypesINSO_IJvvEEES1A_EEEEEEvT0_: ; @_ZN4RAJA8internal22HipKernelLauncherFixedILi256ENS0_8LoopDataIN4camp5tupleIJNS_4SpanINS_9Iterators16numeric_iteratorIllPlEElEESA_EEENS4_IJEEENS3_9resources2v13HipEJZN8rajaperf9polybench19POLYBENCH_JACOBI_2D17runHipVariantImplILm256EEEvNSG_9VariantIDEEUlllE1_EEENS0_24HipStatementListExecutorISM_NS3_4listIJNS_9statement3ForILl0ENS_6policy3hip11hip_indexerINS_17iteration_mapping6DirectELNS_23kernel_sync_requirementE0EJNS_3hip11IndexGlobalILNS_9named_dimE1ELi8ELi0EEEEEEJNSQ_ILl1ENST_ISV_LSW_0EJNSY_ILSZ_0ELi32ELi0EEEEEEJNSP_6LambdaILl0EJEEEEEEEEEEEENS0_9LoopTypesINSO_IJvvEEES1A_EEEEEEvT0_
; %bb.0:
	s_load_dwordx8 s[8:15], s[4:5], 0x0
	s_mov_b32 s0, s7
	s_mov_b32 s1, 0
	;; [unrolled: 1-line block ×3, first 2 shown]
	s_waitcnt lgkmcnt(0)
	s_sub_u32 s2, s10, s8
	s_subb_u32 s3, s11, s9
	s_lshl_b64 s[10:11], s[0:1], 3
	v_mov_b32_e32 v2, s11
	v_add_co_u32_e32 v1, vcc, s10, v1
	v_addc_co_u32_e32 v2, vcc, 0, v2, vcc
	v_cmp_gt_i64_e32 vcc, s[2:3], v[1:2]
	s_sub_u32 s2, s14, s12
	s_subb_u32 s3, s15, s13
	s_lshl_b64 s[0:1], s[6:7], 5
	v_mov_b32_e32 v4, s1
	v_add_co_u32_e64 v3, s[0:1], s0, v0
	v_addc_co_u32_e64 v4, s[0:1], 0, v4, s[0:1]
	v_cmp_gt_i64_e64 s[0:1], s[2:3], v[3:4]
	s_and_b64 s[0:1], vcc, s[0:1]
	s_and_saveexec_b64 s[2:3], s[0:1]
	s_cbranch_execz .LBB4_2
; %bb.1:
	s_load_dwordx2 s[0:1], s[4:5], 0x98
	s_load_dwordx2 s[2:3], s[4:5], 0x80
	;; [unrolled: 1-line block ×3, first 2 shown]
	v_mov_b32_e32 v0, s9
	v_add_co_u32_e32 v13, vcc, s8, v1
	v_addc_co_u32_e32 v14, vcc, v0, v2, vcc
	s_waitcnt lgkmcnt(0)
	v_mul_lo_u32 v2, s1, v13
	v_mul_lo_u32 v7, s0, v14
	v_mad_u64_u32 v[5:6], s[8:9], s0, v13, 0
	v_mov_b32_e32 v1, s13
	v_add_co_u32_e32 v0, vcc, s12, v3
	v_addc_co_u32_e32 v1, vcc, v1, v4, vcc
	v_add3_u32 v6, v6, v7, v2
	v_lshlrev_b64 v[7:8], 3, v[0:1]
	v_mov_b32_e32 v0, s3
	v_add_co_u32_e32 v15, vcc, s2, v7
	v_addc_co_u32_e32 v16, vcc, v0, v8, vcc
	v_lshlrev_b64 v[0:1], 3, v[5:6]
	v_mov_b32_e32 v4, s1
	v_add_co_u32_e32 v9, vcc, v15, v0
	v_addc_co_u32_e32 v10, vcc, v16, v1, vcc
	global_load_dwordx4 v[0:3], v[9:10], off offset:-8
	global_load_dwordx2 v[11:12], v[9:10], off offset:8
	v_add_co_u32_e32 v17, vcc, s0, v5
	v_addc_co_u32_e32 v6, vcc, v6, v4, vcc
	s_lshl_b64 s[2:3], s[0:1], 3
	v_mov_b32_e32 v5, s3
	v_add_co_u32_e32 v4, vcc, s2, v9
	v_addc_co_u32_e32 v5, vcc, v10, v5, vcc
	global_load_dwordx2 v[4:5], v[4:5], off
	s_lshl_b64 s[0:1], s[0:1], 1
	v_mov_b32_e32 v10, s1
	v_subrev_co_u32_e32 v9, vcc, s0, v17
	v_subb_co_u32_e32 v10, vcc, v6, v10, vcc
	v_lshlrev_b64 v[9:10], 3, v[9:10]
	s_load_dwordx2 s[0:1], s[4:5], 0x38
	v_add_co_u32_e32 v9, vcc, v15, v9
	v_addc_co_u32_e32 v10, vcc, v16, v10, vcc
	global_load_dwordx2 v[9:10], v[9:10], off
	s_waitcnt lgkmcnt(0)
	v_mov_b32_e32 v6, s1
	s_waitcnt vmcnt(3)
	v_add_f64 v[0:1], v[2:3], v[0:1]
	v_mad_u64_u32 v[2:3], s[2:3], s6, v13, 0
	s_mov_b32 s2, 0x9999999a
	s_mov_b32 s3, 0x3fc99999
	s_waitcnt vmcnt(2)
	v_add_f64 v[0:1], v[0:1], v[11:12]
	s_waitcnt vmcnt(1)
	v_add_f64 v[0:1], v[0:1], v[4:5]
	v_mul_lo_u32 v4, s7, v13
	v_mul_lo_u32 v5, s6, v14
	v_add3_u32 v3, v3, v5, v4
	v_add_co_u32_e32 v4, vcc, s0, v7
	s_waitcnt vmcnt(0)
	v_add_f64 v[0:1], v[0:1], v[9:10]
	v_lshlrev_b64 v[2:3], 3, v[2:3]
	v_addc_co_u32_e32 v5, vcc, v6, v8, vcc
	v_add_co_u32_e32 v2, vcc, v4, v2
	v_addc_co_u32_e32 v3, vcc, v5, v3, vcc
	v_mul_f64 v[0:1], v[0:1], s[2:3]
	global_store_dwordx2 v[2:3], v[0:1], off
.LBB4_2:
	s_endpgm
	.section	.rodata,"a",@progbits
	.p2align	6, 0x0
	.amdhsa_kernel _ZN4RAJA8internal22HipKernelLauncherFixedILi256ENS0_8LoopDataIN4camp5tupleIJNS_4SpanINS_9Iterators16numeric_iteratorIllPlEElEESA_EEENS4_IJEEENS3_9resources2v13HipEJZN8rajaperf9polybench19POLYBENCH_JACOBI_2D17runHipVariantImplILm256EEEvNSG_9VariantIDEEUlllE1_EEENS0_24HipStatementListExecutorISM_NS3_4listIJNS_9statement3ForILl0ENS_6policy3hip11hip_indexerINS_17iteration_mapping6DirectELNS_23kernel_sync_requirementE0EJNS_3hip11IndexGlobalILNS_9named_dimE1ELi8ELi0EEEEEEJNSQ_ILl1ENST_ISV_LSW_0EJNSY_ILSZ_0ELi32ELi0EEEEEEJNSP_6LambdaILl0EJEEEEEEEEEEEENS0_9LoopTypesINSO_IJvvEEES1A_EEEEEEvT0_
		.amdhsa_group_segment_fixed_size 0
		.amdhsa_private_segment_fixed_size 0
		.amdhsa_kernarg_size 224
		.amdhsa_user_sgpr_count 6
		.amdhsa_user_sgpr_private_segment_buffer 1
		.amdhsa_user_sgpr_dispatch_ptr 0
		.amdhsa_user_sgpr_queue_ptr 0
		.amdhsa_user_sgpr_kernarg_segment_ptr 1
		.amdhsa_user_sgpr_dispatch_id 0
		.amdhsa_user_sgpr_flat_scratch_init 0
		.amdhsa_user_sgpr_private_segment_size 0
		.amdhsa_uses_dynamic_stack 0
		.amdhsa_system_sgpr_private_segment_wavefront_offset 0
		.amdhsa_system_sgpr_workgroup_id_x 1
		.amdhsa_system_sgpr_workgroup_id_y 1
		.amdhsa_system_sgpr_workgroup_id_z 0
		.amdhsa_system_sgpr_workgroup_info 0
		.amdhsa_system_vgpr_workitem_id 1
		.amdhsa_next_free_vgpr 18
		.amdhsa_next_free_sgpr 16
		.amdhsa_reserve_vcc 1
		.amdhsa_reserve_flat_scratch 0
		.amdhsa_float_round_mode_32 0
		.amdhsa_float_round_mode_16_64 0
		.amdhsa_float_denorm_mode_32 3
		.amdhsa_float_denorm_mode_16_64 3
		.amdhsa_dx10_clamp 1
		.amdhsa_ieee_mode 1
		.amdhsa_fp16_overflow 0
		.amdhsa_exception_fp_ieee_invalid_op 0
		.amdhsa_exception_fp_denorm_src 0
		.amdhsa_exception_fp_ieee_div_zero 0
		.amdhsa_exception_fp_ieee_overflow 0
		.amdhsa_exception_fp_ieee_underflow 0
		.amdhsa_exception_fp_ieee_inexact 0
		.amdhsa_exception_int_div_zero 0
	.end_amdhsa_kernel
	.section	.text._ZN4RAJA8internal22HipKernelLauncherFixedILi256ENS0_8LoopDataIN4camp5tupleIJNS_4SpanINS_9Iterators16numeric_iteratorIllPlEElEESA_EEENS4_IJEEENS3_9resources2v13HipEJZN8rajaperf9polybench19POLYBENCH_JACOBI_2D17runHipVariantImplILm256EEEvNSG_9VariantIDEEUlllE1_EEENS0_24HipStatementListExecutorISM_NS3_4listIJNS_9statement3ForILl0ENS_6policy3hip11hip_indexerINS_17iteration_mapping6DirectELNS_23kernel_sync_requirementE0EJNS_3hip11IndexGlobalILNS_9named_dimE1ELi8ELi0EEEEEEJNSQ_ILl1ENST_ISV_LSW_0EJNSY_ILSZ_0ELi32ELi0EEEEEEJNSP_6LambdaILl0EJEEEEEEEEEEEENS0_9LoopTypesINSO_IJvvEEES1A_EEEEEEvT0_,"axG",@progbits,_ZN4RAJA8internal22HipKernelLauncherFixedILi256ENS0_8LoopDataIN4camp5tupleIJNS_4SpanINS_9Iterators16numeric_iteratorIllPlEElEESA_EEENS4_IJEEENS3_9resources2v13HipEJZN8rajaperf9polybench19POLYBENCH_JACOBI_2D17runHipVariantImplILm256EEEvNSG_9VariantIDEEUlllE1_EEENS0_24HipStatementListExecutorISM_NS3_4listIJNS_9statement3ForILl0ENS_6policy3hip11hip_indexerINS_17iteration_mapping6DirectELNS_23kernel_sync_requirementE0EJNS_3hip11IndexGlobalILNS_9named_dimE1ELi8ELi0EEEEEEJNSQ_ILl1ENST_ISV_LSW_0EJNSY_ILSZ_0ELi32ELi0EEEEEEJNSP_6LambdaILl0EJEEEEEEEEEEEENS0_9LoopTypesINSO_IJvvEEES1A_EEEEEEvT0_,comdat
.Lfunc_end4:
	.size	_ZN4RAJA8internal22HipKernelLauncherFixedILi256ENS0_8LoopDataIN4camp5tupleIJNS_4SpanINS_9Iterators16numeric_iteratorIllPlEElEESA_EEENS4_IJEEENS3_9resources2v13HipEJZN8rajaperf9polybench19POLYBENCH_JACOBI_2D17runHipVariantImplILm256EEEvNSG_9VariantIDEEUlllE1_EEENS0_24HipStatementListExecutorISM_NS3_4listIJNS_9statement3ForILl0ENS_6policy3hip11hip_indexerINS_17iteration_mapping6DirectELNS_23kernel_sync_requirementE0EJNS_3hip11IndexGlobalILNS_9named_dimE1ELi8ELi0EEEEEEJNSQ_ILl1ENST_ISV_LSW_0EJNSY_ILSZ_0ELi32ELi0EEEEEEJNSP_6LambdaILl0EJEEEEEEEEEEEENS0_9LoopTypesINSO_IJvvEEES1A_EEEEEEvT0_, .Lfunc_end4-_ZN4RAJA8internal22HipKernelLauncherFixedILi256ENS0_8LoopDataIN4camp5tupleIJNS_4SpanINS_9Iterators16numeric_iteratorIllPlEElEESA_EEENS4_IJEEENS3_9resources2v13HipEJZN8rajaperf9polybench19POLYBENCH_JACOBI_2D17runHipVariantImplILm256EEEvNSG_9VariantIDEEUlllE1_EEENS0_24HipStatementListExecutorISM_NS3_4listIJNS_9statement3ForILl0ENS_6policy3hip11hip_indexerINS_17iteration_mapping6DirectELNS_23kernel_sync_requirementE0EJNS_3hip11IndexGlobalILNS_9named_dimE1ELi8ELi0EEEEEEJNSQ_ILl1ENST_ISV_LSW_0EJNSY_ILSZ_0ELi32ELi0EEEEEEJNSP_6LambdaILl0EJEEEEEEEEEEEENS0_9LoopTypesINSO_IJvvEEES1A_EEEEEEvT0_
                                        ; -- End function
	.set _ZN4RAJA8internal22HipKernelLauncherFixedILi256ENS0_8LoopDataIN4camp5tupleIJNS_4SpanINS_9Iterators16numeric_iteratorIllPlEElEESA_EEENS4_IJEEENS3_9resources2v13HipEJZN8rajaperf9polybench19POLYBENCH_JACOBI_2D17runHipVariantImplILm256EEEvNSG_9VariantIDEEUlllE1_EEENS0_24HipStatementListExecutorISM_NS3_4listIJNS_9statement3ForILl0ENS_6policy3hip11hip_indexerINS_17iteration_mapping6DirectELNS_23kernel_sync_requirementE0EJNS_3hip11IndexGlobalILNS_9named_dimE1ELi8ELi0EEEEEEJNSQ_ILl1ENST_ISV_LSW_0EJNSY_ILSZ_0ELi32ELi0EEEEEEJNSP_6LambdaILl0EJEEEEEEEEEEEENS0_9LoopTypesINSO_IJvvEEES1A_EEEEEEvT0_.num_vgpr, 18
	.set _ZN4RAJA8internal22HipKernelLauncherFixedILi256ENS0_8LoopDataIN4camp5tupleIJNS_4SpanINS_9Iterators16numeric_iteratorIllPlEElEESA_EEENS4_IJEEENS3_9resources2v13HipEJZN8rajaperf9polybench19POLYBENCH_JACOBI_2D17runHipVariantImplILm256EEEvNSG_9VariantIDEEUlllE1_EEENS0_24HipStatementListExecutorISM_NS3_4listIJNS_9statement3ForILl0ENS_6policy3hip11hip_indexerINS_17iteration_mapping6DirectELNS_23kernel_sync_requirementE0EJNS_3hip11IndexGlobalILNS_9named_dimE1ELi8ELi0EEEEEEJNSQ_ILl1ENST_ISV_LSW_0EJNSY_ILSZ_0ELi32ELi0EEEEEEJNSP_6LambdaILl0EJEEEEEEEEEEEENS0_9LoopTypesINSO_IJvvEEES1A_EEEEEEvT0_.num_agpr, 0
	.set _ZN4RAJA8internal22HipKernelLauncherFixedILi256ENS0_8LoopDataIN4camp5tupleIJNS_4SpanINS_9Iterators16numeric_iteratorIllPlEElEESA_EEENS4_IJEEENS3_9resources2v13HipEJZN8rajaperf9polybench19POLYBENCH_JACOBI_2D17runHipVariantImplILm256EEEvNSG_9VariantIDEEUlllE1_EEENS0_24HipStatementListExecutorISM_NS3_4listIJNS_9statement3ForILl0ENS_6policy3hip11hip_indexerINS_17iteration_mapping6DirectELNS_23kernel_sync_requirementE0EJNS_3hip11IndexGlobalILNS_9named_dimE1ELi8ELi0EEEEEEJNSQ_ILl1ENST_ISV_LSW_0EJNSY_ILSZ_0ELi32ELi0EEEEEEJNSP_6LambdaILl0EJEEEEEEEEEEEENS0_9LoopTypesINSO_IJvvEEES1A_EEEEEEvT0_.numbered_sgpr, 16
	.set _ZN4RAJA8internal22HipKernelLauncherFixedILi256ENS0_8LoopDataIN4camp5tupleIJNS_4SpanINS_9Iterators16numeric_iteratorIllPlEElEESA_EEENS4_IJEEENS3_9resources2v13HipEJZN8rajaperf9polybench19POLYBENCH_JACOBI_2D17runHipVariantImplILm256EEEvNSG_9VariantIDEEUlllE1_EEENS0_24HipStatementListExecutorISM_NS3_4listIJNS_9statement3ForILl0ENS_6policy3hip11hip_indexerINS_17iteration_mapping6DirectELNS_23kernel_sync_requirementE0EJNS_3hip11IndexGlobalILNS_9named_dimE1ELi8ELi0EEEEEEJNSQ_ILl1ENST_ISV_LSW_0EJNSY_ILSZ_0ELi32ELi0EEEEEEJNSP_6LambdaILl0EJEEEEEEEEEEEENS0_9LoopTypesINSO_IJvvEEES1A_EEEEEEvT0_.num_named_barrier, 0
	.set _ZN4RAJA8internal22HipKernelLauncherFixedILi256ENS0_8LoopDataIN4camp5tupleIJNS_4SpanINS_9Iterators16numeric_iteratorIllPlEElEESA_EEENS4_IJEEENS3_9resources2v13HipEJZN8rajaperf9polybench19POLYBENCH_JACOBI_2D17runHipVariantImplILm256EEEvNSG_9VariantIDEEUlllE1_EEENS0_24HipStatementListExecutorISM_NS3_4listIJNS_9statement3ForILl0ENS_6policy3hip11hip_indexerINS_17iteration_mapping6DirectELNS_23kernel_sync_requirementE0EJNS_3hip11IndexGlobalILNS_9named_dimE1ELi8ELi0EEEEEEJNSQ_ILl1ENST_ISV_LSW_0EJNSY_ILSZ_0ELi32ELi0EEEEEEJNSP_6LambdaILl0EJEEEEEEEEEEEENS0_9LoopTypesINSO_IJvvEEES1A_EEEEEEvT0_.private_seg_size, 0
	.set _ZN4RAJA8internal22HipKernelLauncherFixedILi256ENS0_8LoopDataIN4camp5tupleIJNS_4SpanINS_9Iterators16numeric_iteratorIllPlEElEESA_EEENS4_IJEEENS3_9resources2v13HipEJZN8rajaperf9polybench19POLYBENCH_JACOBI_2D17runHipVariantImplILm256EEEvNSG_9VariantIDEEUlllE1_EEENS0_24HipStatementListExecutorISM_NS3_4listIJNS_9statement3ForILl0ENS_6policy3hip11hip_indexerINS_17iteration_mapping6DirectELNS_23kernel_sync_requirementE0EJNS_3hip11IndexGlobalILNS_9named_dimE1ELi8ELi0EEEEEEJNSQ_ILl1ENST_ISV_LSW_0EJNSY_ILSZ_0ELi32ELi0EEEEEEJNSP_6LambdaILl0EJEEEEEEEEEEEENS0_9LoopTypesINSO_IJvvEEES1A_EEEEEEvT0_.uses_vcc, 1
	.set _ZN4RAJA8internal22HipKernelLauncherFixedILi256ENS0_8LoopDataIN4camp5tupleIJNS_4SpanINS_9Iterators16numeric_iteratorIllPlEElEESA_EEENS4_IJEEENS3_9resources2v13HipEJZN8rajaperf9polybench19POLYBENCH_JACOBI_2D17runHipVariantImplILm256EEEvNSG_9VariantIDEEUlllE1_EEENS0_24HipStatementListExecutorISM_NS3_4listIJNS_9statement3ForILl0ENS_6policy3hip11hip_indexerINS_17iteration_mapping6DirectELNS_23kernel_sync_requirementE0EJNS_3hip11IndexGlobalILNS_9named_dimE1ELi8ELi0EEEEEEJNSQ_ILl1ENST_ISV_LSW_0EJNSY_ILSZ_0ELi32ELi0EEEEEEJNSP_6LambdaILl0EJEEEEEEEEEEEENS0_9LoopTypesINSO_IJvvEEES1A_EEEEEEvT0_.uses_flat_scratch, 0
	.set _ZN4RAJA8internal22HipKernelLauncherFixedILi256ENS0_8LoopDataIN4camp5tupleIJNS_4SpanINS_9Iterators16numeric_iteratorIllPlEElEESA_EEENS4_IJEEENS3_9resources2v13HipEJZN8rajaperf9polybench19POLYBENCH_JACOBI_2D17runHipVariantImplILm256EEEvNSG_9VariantIDEEUlllE1_EEENS0_24HipStatementListExecutorISM_NS3_4listIJNS_9statement3ForILl0ENS_6policy3hip11hip_indexerINS_17iteration_mapping6DirectELNS_23kernel_sync_requirementE0EJNS_3hip11IndexGlobalILNS_9named_dimE1ELi8ELi0EEEEEEJNSQ_ILl1ENST_ISV_LSW_0EJNSY_ILSZ_0ELi32ELi0EEEEEEJNSP_6LambdaILl0EJEEEEEEEEEEEENS0_9LoopTypesINSO_IJvvEEES1A_EEEEEEvT0_.has_dyn_sized_stack, 0
	.set _ZN4RAJA8internal22HipKernelLauncherFixedILi256ENS0_8LoopDataIN4camp5tupleIJNS_4SpanINS_9Iterators16numeric_iteratorIllPlEElEESA_EEENS4_IJEEENS3_9resources2v13HipEJZN8rajaperf9polybench19POLYBENCH_JACOBI_2D17runHipVariantImplILm256EEEvNSG_9VariantIDEEUlllE1_EEENS0_24HipStatementListExecutorISM_NS3_4listIJNS_9statement3ForILl0ENS_6policy3hip11hip_indexerINS_17iteration_mapping6DirectELNS_23kernel_sync_requirementE0EJNS_3hip11IndexGlobalILNS_9named_dimE1ELi8ELi0EEEEEEJNSQ_ILl1ENST_ISV_LSW_0EJNSY_ILSZ_0ELi32ELi0EEEEEEJNSP_6LambdaILl0EJEEEEEEEEEEEENS0_9LoopTypesINSO_IJvvEEES1A_EEEEEEvT0_.has_recursion, 0
	.set _ZN4RAJA8internal22HipKernelLauncherFixedILi256ENS0_8LoopDataIN4camp5tupleIJNS_4SpanINS_9Iterators16numeric_iteratorIllPlEElEESA_EEENS4_IJEEENS3_9resources2v13HipEJZN8rajaperf9polybench19POLYBENCH_JACOBI_2D17runHipVariantImplILm256EEEvNSG_9VariantIDEEUlllE1_EEENS0_24HipStatementListExecutorISM_NS3_4listIJNS_9statement3ForILl0ENS_6policy3hip11hip_indexerINS_17iteration_mapping6DirectELNS_23kernel_sync_requirementE0EJNS_3hip11IndexGlobalILNS_9named_dimE1ELi8ELi0EEEEEEJNSQ_ILl1ENST_ISV_LSW_0EJNSY_ILSZ_0ELi32ELi0EEEEEEJNSP_6LambdaILl0EJEEEEEEEEEEEENS0_9LoopTypesINSO_IJvvEEES1A_EEEEEEvT0_.has_indirect_call, 0
	.section	.AMDGPU.csdata,"",@progbits
; Kernel info:
; codeLenInByte = 472
; TotalNumSgprs: 20
; NumVgprs: 18
; ScratchSize: 0
; MemoryBound: 0
; FloatMode: 240
; IeeeMode: 1
; LDSByteSize: 0 bytes/workgroup (compile time only)
; SGPRBlocks: 2
; VGPRBlocks: 4
; NumSGPRsForWavesPerEU: 20
; NumVGPRsForWavesPerEU: 18
; Occupancy: 10
; WaveLimiterHint : 0
; COMPUTE_PGM_RSRC2:SCRATCH_EN: 0
; COMPUTE_PGM_RSRC2:USER_SGPR: 6
; COMPUTE_PGM_RSRC2:TRAP_HANDLER: 0
; COMPUTE_PGM_RSRC2:TGID_X_EN: 1
; COMPUTE_PGM_RSRC2:TGID_Y_EN: 1
; COMPUTE_PGM_RSRC2:TGID_Z_EN: 0
; COMPUTE_PGM_RSRC2:TIDIG_COMP_CNT: 1
	.section	.text._ZN4RAJA8internal22HipKernelLauncherFixedILi256ENS0_8LoopDataIN4camp5tupleIJNS_4SpanINS_9Iterators16numeric_iteratorIllPlEElEESA_EEENS4_IJEEENS3_9resources2v13HipEJZN8rajaperf9polybench19POLYBENCH_JACOBI_2D17runHipVariantImplILm256EEEvNSG_9VariantIDEEUlllE2_EEENS0_24HipStatementListExecutorISM_NS3_4listIJNS_9statement3ForILl0ENS_6policy3hip11hip_indexerINS_17iteration_mapping6DirectELNS_23kernel_sync_requirementE0EJNS_3hip11IndexGlobalILNS_9named_dimE1ELi8ELi0EEEEEEJNSQ_ILl1ENST_ISV_LSW_0EJNSY_ILSZ_0ELi32ELi0EEEEEEJNSP_6LambdaILl0EJEEEEEEEEEEEENS0_9LoopTypesINSO_IJvvEEES1A_EEEEEEvT0_,"axG",@progbits,_ZN4RAJA8internal22HipKernelLauncherFixedILi256ENS0_8LoopDataIN4camp5tupleIJNS_4SpanINS_9Iterators16numeric_iteratorIllPlEElEESA_EEENS4_IJEEENS3_9resources2v13HipEJZN8rajaperf9polybench19POLYBENCH_JACOBI_2D17runHipVariantImplILm256EEEvNSG_9VariantIDEEUlllE2_EEENS0_24HipStatementListExecutorISM_NS3_4listIJNS_9statement3ForILl0ENS_6policy3hip11hip_indexerINS_17iteration_mapping6DirectELNS_23kernel_sync_requirementE0EJNS_3hip11IndexGlobalILNS_9named_dimE1ELi8ELi0EEEEEEJNSQ_ILl1ENST_ISV_LSW_0EJNSY_ILSZ_0ELi32ELi0EEEEEEJNSP_6LambdaILl0EJEEEEEEEEEEEENS0_9LoopTypesINSO_IJvvEEES1A_EEEEEEvT0_,comdat
	.protected	_ZN4RAJA8internal22HipKernelLauncherFixedILi256ENS0_8LoopDataIN4camp5tupleIJNS_4SpanINS_9Iterators16numeric_iteratorIllPlEElEESA_EEENS4_IJEEENS3_9resources2v13HipEJZN8rajaperf9polybench19POLYBENCH_JACOBI_2D17runHipVariantImplILm256EEEvNSG_9VariantIDEEUlllE2_EEENS0_24HipStatementListExecutorISM_NS3_4listIJNS_9statement3ForILl0ENS_6policy3hip11hip_indexerINS_17iteration_mapping6DirectELNS_23kernel_sync_requirementE0EJNS_3hip11IndexGlobalILNS_9named_dimE1ELi8ELi0EEEEEEJNSQ_ILl1ENST_ISV_LSW_0EJNSY_ILSZ_0ELi32ELi0EEEEEEJNSP_6LambdaILl0EJEEEEEEEEEEEENS0_9LoopTypesINSO_IJvvEEES1A_EEEEEEvT0_ ; -- Begin function _ZN4RAJA8internal22HipKernelLauncherFixedILi256ENS0_8LoopDataIN4camp5tupleIJNS_4SpanINS_9Iterators16numeric_iteratorIllPlEElEESA_EEENS4_IJEEENS3_9resources2v13HipEJZN8rajaperf9polybench19POLYBENCH_JACOBI_2D17runHipVariantImplILm256EEEvNSG_9VariantIDEEUlllE2_EEENS0_24HipStatementListExecutorISM_NS3_4listIJNS_9statement3ForILl0ENS_6policy3hip11hip_indexerINS_17iteration_mapping6DirectELNS_23kernel_sync_requirementE0EJNS_3hip11IndexGlobalILNS_9named_dimE1ELi8ELi0EEEEEEJNSQ_ILl1ENST_ISV_LSW_0EJNSY_ILSZ_0ELi32ELi0EEEEEEJNSP_6LambdaILl0EJEEEEEEEEEEEENS0_9LoopTypesINSO_IJvvEEES1A_EEEEEEvT0_
	.globl	_ZN4RAJA8internal22HipKernelLauncherFixedILi256ENS0_8LoopDataIN4camp5tupleIJNS_4SpanINS_9Iterators16numeric_iteratorIllPlEElEESA_EEENS4_IJEEENS3_9resources2v13HipEJZN8rajaperf9polybench19POLYBENCH_JACOBI_2D17runHipVariantImplILm256EEEvNSG_9VariantIDEEUlllE2_EEENS0_24HipStatementListExecutorISM_NS3_4listIJNS_9statement3ForILl0ENS_6policy3hip11hip_indexerINS_17iteration_mapping6DirectELNS_23kernel_sync_requirementE0EJNS_3hip11IndexGlobalILNS_9named_dimE1ELi8ELi0EEEEEEJNSQ_ILl1ENST_ISV_LSW_0EJNSY_ILSZ_0ELi32ELi0EEEEEEJNSP_6LambdaILl0EJEEEEEEEEEEEENS0_9LoopTypesINSO_IJvvEEES1A_EEEEEEvT0_
	.p2align	8
	.type	_ZN4RAJA8internal22HipKernelLauncherFixedILi256ENS0_8LoopDataIN4camp5tupleIJNS_4SpanINS_9Iterators16numeric_iteratorIllPlEElEESA_EEENS4_IJEEENS3_9resources2v13HipEJZN8rajaperf9polybench19POLYBENCH_JACOBI_2D17runHipVariantImplILm256EEEvNSG_9VariantIDEEUlllE2_EEENS0_24HipStatementListExecutorISM_NS3_4listIJNS_9statement3ForILl0ENS_6policy3hip11hip_indexerINS_17iteration_mapping6DirectELNS_23kernel_sync_requirementE0EJNS_3hip11IndexGlobalILNS_9named_dimE1ELi8ELi0EEEEEEJNSQ_ILl1ENST_ISV_LSW_0EJNSY_ILSZ_0ELi32ELi0EEEEEEJNSP_6LambdaILl0EJEEEEEEEEEEEENS0_9LoopTypesINSO_IJvvEEES1A_EEEEEEvT0_,@function
_ZN4RAJA8internal22HipKernelLauncherFixedILi256ENS0_8LoopDataIN4camp5tupleIJNS_4SpanINS_9Iterators16numeric_iteratorIllPlEElEESA_EEENS4_IJEEENS3_9resources2v13HipEJZN8rajaperf9polybench19POLYBENCH_JACOBI_2D17runHipVariantImplILm256EEEvNSG_9VariantIDEEUlllE2_EEENS0_24HipStatementListExecutorISM_NS3_4listIJNS_9statement3ForILl0ENS_6policy3hip11hip_indexerINS_17iteration_mapping6DirectELNS_23kernel_sync_requirementE0EJNS_3hip11IndexGlobalILNS_9named_dimE1ELi8ELi0EEEEEEJNSQ_ILl1ENST_ISV_LSW_0EJNSY_ILSZ_0ELi32ELi0EEEEEEJNSP_6LambdaILl0EJEEEEEEEEEEEENS0_9LoopTypesINSO_IJvvEEES1A_EEEEEEvT0_: ; @_ZN4RAJA8internal22HipKernelLauncherFixedILi256ENS0_8LoopDataIN4camp5tupleIJNS_4SpanINS_9Iterators16numeric_iteratorIllPlEElEESA_EEENS4_IJEEENS3_9resources2v13HipEJZN8rajaperf9polybench19POLYBENCH_JACOBI_2D17runHipVariantImplILm256EEEvNSG_9VariantIDEEUlllE2_EEENS0_24HipStatementListExecutorISM_NS3_4listIJNS_9statement3ForILl0ENS_6policy3hip11hip_indexerINS_17iteration_mapping6DirectELNS_23kernel_sync_requirementE0EJNS_3hip11IndexGlobalILNS_9named_dimE1ELi8ELi0EEEEEEJNSQ_ILl1ENST_ISV_LSW_0EJNSY_ILSZ_0ELi32ELi0EEEEEEJNSP_6LambdaILl0EJEEEEEEEEEEEENS0_9LoopTypesINSO_IJvvEEES1A_EEEEEEvT0_
; %bb.0:
	s_load_dwordx8 s[8:15], s[4:5], 0x0
	s_mov_b32 s0, s7
	s_mov_b32 s1, 0
	;; [unrolled: 1-line block ×3, first 2 shown]
	s_waitcnt lgkmcnt(0)
	s_sub_u32 s2, s10, s8
	s_subb_u32 s3, s11, s9
	s_lshl_b64 s[10:11], s[0:1], 3
	v_mov_b32_e32 v2, s11
	v_add_co_u32_e32 v1, vcc, s10, v1
	v_addc_co_u32_e32 v2, vcc, 0, v2, vcc
	v_cmp_gt_i64_e32 vcc, s[2:3], v[1:2]
	s_sub_u32 s2, s14, s12
	s_subb_u32 s3, s15, s13
	s_lshl_b64 s[0:1], s[6:7], 5
	v_mov_b32_e32 v4, s1
	v_add_co_u32_e64 v3, s[0:1], s0, v0
	v_addc_co_u32_e64 v4, s[0:1], 0, v4, s[0:1]
	v_cmp_gt_i64_e64 s[0:1], s[2:3], v[3:4]
	s_and_b64 s[0:1], vcc, s[0:1]
	s_and_saveexec_b64 s[2:3], s[0:1]
	s_cbranch_execz .LBB5_2
; %bb.1:
	s_load_dwordx2 s[0:1], s[4:5], 0x98
	s_load_dwordx2 s[2:3], s[4:5], 0x80
	;; [unrolled: 1-line block ×3, first 2 shown]
	v_mov_b32_e32 v0, s9
	v_add_co_u32_e32 v13, vcc, s8, v1
	v_addc_co_u32_e32 v14, vcc, v0, v2, vcc
	s_waitcnt lgkmcnt(0)
	v_mul_lo_u32 v2, s1, v13
	v_mul_lo_u32 v7, s0, v14
	v_mad_u64_u32 v[5:6], s[8:9], s0, v13, 0
	v_mov_b32_e32 v1, s13
	v_add_co_u32_e32 v0, vcc, s12, v3
	v_addc_co_u32_e32 v1, vcc, v1, v4, vcc
	v_add3_u32 v6, v6, v7, v2
	v_lshlrev_b64 v[7:8], 3, v[0:1]
	v_mov_b32_e32 v0, s3
	v_add_co_u32_e32 v15, vcc, s2, v7
	v_addc_co_u32_e32 v16, vcc, v0, v8, vcc
	v_lshlrev_b64 v[0:1], 3, v[5:6]
	v_mov_b32_e32 v4, s1
	v_add_co_u32_e32 v9, vcc, v15, v0
	v_addc_co_u32_e32 v10, vcc, v16, v1, vcc
	global_load_dwordx4 v[0:3], v[9:10], off offset:-8
	global_load_dwordx2 v[11:12], v[9:10], off offset:8
	v_add_co_u32_e32 v17, vcc, s0, v5
	v_addc_co_u32_e32 v6, vcc, v6, v4, vcc
	s_lshl_b64 s[2:3], s[0:1], 3
	v_mov_b32_e32 v5, s3
	v_add_co_u32_e32 v4, vcc, s2, v9
	v_addc_co_u32_e32 v5, vcc, v10, v5, vcc
	global_load_dwordx2 v[4:5], v[4:5], off
	s_lshl_b64 s[0:1], s[0:1], 1
	v_mov_b32_e32 v10, s1
	v_subrev_co_u32_e32 v9, vcc, s0, v17
	v_subb_co_u32_e32 v10, vcc, v6, v10, vcc
	v_lshlrev_b64 v[9:10], 3, v[9:10]
	s_load_dwordx2 s[0:1], s[4:5], 0x38
	v_add_co_u32_e32 v9, vcc, v15, v9
	v_addc_co_u32_e32 v10, vcc, v16, v10, vcc
	global_load_dwordx2 v[9:10], v[9:10], off
	s_waitcnt lgkmcnt(0)
	v_mov_b32_e32 v6, s1
	s_waitcnt vmcnt(3)
	v_add_f64 v[0:1], v[2:3], v[0:1]
	v_mad_u64_u32 v[2:3], s[2:3], s6, v13, 0
	s_mov_b32 s2, 0x9999999a
	s_mov_b32 s3, 0x3fc99999
	s_waitcnt vmcnt(2)
	v_add_f64 v[0:1], v[0:1], v[11:12]
	s_waitcnt vmcnt(1)
	v_add_f64 v[0:1], v[0:1], v[4:5]
	v_mul_lo_u32 v4, s7, v13
	v_mul_lo_u32 v5, s6, v14
	v_add3_u32 v3, v3, v5, v4
	v_add_co_u32_e32 v4, vcc, s0, v7
	s_waitcnt vmcnt(0)
	v_add_f64 v[0:1], v[0:1], v[9:10]
	v_lshlrev_b64 v[2:3], 3, v[2:3]
	v_addc_co_u32_e32 v5, vcc, v6, v8, vcc
	v_add_co_u32_e32 v2, vcc, v4, v2
	v_addc_co_u32_e32 v3, vcc, v5, v3, vcc
	v_mul_f64 v[0:1], v[0:1], s[2:3]
	global_store_dwordx2 v[2:3], v[0:1], off
.LBB5_2:
	s_endpgm
	.section	.rodata,"a",@progbits
	.p2align	6, 0x0
	.amdhsa_kernel _ZN4RAJA8internal22HipKernelLauncherFixedILi256ENS0_8LoopDataIN4camp5tupleIJNS_4SpanINS_9Iterators16numeric_iteratorIllPlEElEESA_EEENS4_IJEEENS3_9resources2v13HipEJZN8rajaperf9polybench19POLYBENCH_JACOBI_2D17runHipVariantImplILm256EEEvNSG_9VariantIDEEUlllE2_EEENS0_24HipStatementListExecutorISM_NS3_4listIJNS_9statement3ForILl0ENS_6policy3hip11hip_indexerINS_17iteration_mapping6DirectELNS_23kernel_sync_requirementE0EJNS_3hip11IndexGlobalILNS_9named_dimE1ELi8ELi0EEEEEEJNSQ_ILl1ENST_ISV_LSW_0EJNSY_ILSZ_0ELi32ELi0EEEEEEJNSP_6LambdaILl0EJEEEEEEEEEEEENS0_9LoopTypesINSO_IJvvEEES1A_EEEEEEvT0_
		.amdhsa_group_segment_fixed_size 0
		.amdhsa_private_segment_fixed_size 0
		.amdhsa_kernarg_size 224
		.amdhsa_user_sgpr_count 6
		.amdhsa_user_sgpr_private_segment_buffer 1
		.amdhsa_user_sgpr_dispatch_ptr 0
		.amdhsa_user_sgpr_queue_ptr 0
		.amdhsa_user_sgpr_kernarg_segment_ptr 1
		.amdhsa_user_sgpr_dispatch_id 0
		.amdhsa_user_sgpr_flat_scratch_init 0
		.amdhsa_user_sgpr_private_segment_size 0
		.amdhsa_uses_dynamic_stack 0
		.amdhsa_system_sgpr_private_segment_wavefront_offset 0
		.amdhsa_system_sgpr_workgroup_id_x 1
		.amdhsa_system_sgpr_workgroup_id_y 1
		.amdhsa_system_sgpr_workgroup_id_z 0
		.amdhsa_system_sgpr_workgroup_info 0
		.amdhsa_system_vgpr_workitem_id 1
		.amdhsa_next_free_vgpr 18
		.amdhsa_next_free_sgpr 16
		.amdhsa_reserve_vcc 1
		.amdhsa_reserve_flat_scratch 0
		.amdhsa_float_round_mode_32 0
		.amdhsa_float_round_mode_16_64 0
		.amdhsa_float_denorm_mode_32 3
		.amdhsa_float_denorm_mode_16_64 3
		.amdhsa_dx10_clamp 1
		.amdhsa_ieee_mode 1
		.amdhsa_fp16_overflow 0
		.amdhsa_exception_fp_ieee_invalid_op 0
		.amdhsa_exception_fp_denorm_src 0
		.amdhsa_exception_fp_ieee_div_zero 0
		.amdhsa_exception_fp_ieee_overflow 0
		.amdhsa_exception_fp_ieee_underflow 0
		.amdhsa_exception_fp_ieee_inexact 0
		.amdhsa_exception_int_div_zero 0
	.end_amdhsa_kernel
	.section	.text._ZN4RAJA8internal22HipKernelLauncherFixedILi256ENS0_8LoopDataIN4camp5tupleIJNS_4SpanINS_9Iterators16numeric_iteratorIllPlEElEESA_EEENS4_IJEEENS3_9resources2v13HipEJZN8rajaperf9polybench19POLYBENCH_JACOBI_2D17runHipVariantImplILm256EEEvNSG_9VariantIDEEUlllE2_EEENS0_24HipStatementListExecutorISM_NS3_4listIJNS_9statement3ForILl0ENS_6policy3hip11hip_indexerINS_17iteration_mapping6DirectELNS_23kernel_sync_requirementE0EJNS_3hip11IndexGlobalILNS_9named_dimE1ELi8ELi0EEEEEEJNSQ_ILl1ENST_ISV_LSW_0EJNSY_ILSZ_0ELi32ELi0EEEEEEJNSP_6LambdaILl0EJEEEEEEEEEEEENS0_9LoopTypesINSO_IJvvEEES1A_EEEEEEvT0_,"axG",@progbits,_ZN4RAJA8internal22HipKernelLauncherFixedILi256ENS0_8LoopDataIN4camp5tupleIJNS_4SpanINS_9Iterators16numeric_iteratorIllPlEElEESA_EEENS4_IJEEENS3_9resources2v13HipEJZN8rajaperf9polybench19POLYBENCH_JACOBI_2D17runHipVariantImplILm256EEEvNSG_9VariantIDEEUlllE2_EEENS0_24HipStatementListExecutorISM_NS3_4listIJNS_9statement3ForILl0ENS_6policy3hip11hip_indexerINS_17iteration_mapping6DirectELNS_23kernel_sync_requirementE0EJNS_3hip11IndexGlobalILNS_9named_dimE1ELi8ELi0EEEEEEJNSQ_ILl1ENST_ISV_LSW_0EJNSY_ILSZ_0ELi32ELi0EEEEEEJNSP_6LambdaILl0EJEEEEEEEEEEEENS0_9LoopTypesINSO_IJvvEEES1A_EEEEEEvT0_,comdat
.Lfunc_end5:
	.size	_ZN4RAJA8internal22HipKernelLauncherFixedILi256ENS0_8LoopDataIN4camp5tupleIJNS_4SpanINS_9Iterators16numeric_iteratorIllPlEElEESA_EEENS4_IJEEENS3_9resources2v13HipEJZN8rajaperf9polybench19POLYBENCH_JACOBI_2D17runHipVariantImplILm256EEEvNSG_9VariantIDEEUlllE2_EEENS0_24HipStatementListExecutorISM_NS3_4listIJNS_9statement3ForILl0ENS_6policy3hip11hip_indexerINS_17iteration_mapping6DirectELNS_23kernel_sync_requirementE0EJNS_3hip11IndexGlobalILNS_9named_dimE1ELi8ELi0EEEEEEJNSQ_ILl1ENST_ISV_LSW_0EJNSY_ILSZ_0ELi32ELi0EEEEEEJNSP_6LambdaILl0EJEEEEEEEEEEEENS0_9LoopTypesINSO_IJvvEEES1A_EEEEEEvT0_, .Lfunc_end5-_ZN4RAJA8internal22HipKernelLauncherFixedILi256ENS0_8LoopDataIN4camp5tupleIJNS_4SpanINS_9Iterators16numeric_iteratorIllPlEElEESA_EEENS4_IJEEENS3_9resources2v13HipEJZN8rajaperf9polybench19POLYBENCH_JACOBI_2D17runHipVariantImplILm256EEEvNSG_9VariantIDEEUlllE2_EEENS0_24HipStatementListExecutorISM_NS3_4listIJNS_9statement3ForILl0ENS_6policy3hip11hip_indexerINS_17iteration_mapping6DirectELNS_23kernel_sync_requirementE0EJNS_3hip11IndexGlobalILNS_9named_dimE1ELi8ELi0EEEEEEJNSQ_ILl1ENST_ISV_LSW_0EJNSY_ILSZ_0ELi32ELi0EEEEEEJNSP_6LambdaILl0EJEEEEEEEEEEEENS0_9LoopTypesINSO_IJvvEEES1A_EEEEEEvT0_
                                        ; -- End function
	.set _ZN4RAJA8internal22HipKernelLauncherFixedILi256ENS0_8LoopDataIN4camp5tupleIJNS_4SpanINS_9Iterators16numeric_iteratorIllPlEElEESA_EEENS4_IJEEENS3_9resources2v13HipEJZN8rajaperf9polybench19POLYBENCH_JACOBI_2D17runHipVariantImplILm256EEEvNSG_9VariantIDEEUlllE2_EEENS0_24HipStatementListExecutorISM_NS3_4listIJNS_9statement3ForILl0ENS_6policy3hip11hip_indexerINS_17iteration_mapping6DirectELNS_23kernel_sync_requirementE0EJNS_3hip11IndexGlobalILNS_9named_dimE1ELi8ELi0EEEEEEJNSQ_ILl1ENST_ISV_LSW_0EJNSY_ILSZ_0ELi32ELi0EEEEEEJNSP_6LambdaILl0EJEEEEEEEEEEEENS0_9LoopTypesINSO_IJvvEEES1A_EEEEEEvT0_.num_vgpr, 18
	.set _ZN4RAJA8internal22HipKernelLauncherFixedILi256ENS0_8LoopDataIN4camp5tupleIJNS_4SpanINS_9Iterators16numeric_iteratorIllPlEElEESA_EEENS4_IJEEENS3_9resources2v13HipEJZN8rajaperf9polybench19POLYBENCH_JACOBI_2D17runHipVariantImplILm256EEEvNSG_9VariantIDEEUlllE2_EEENS0_24HipStatementListExecutorISM_NS3_4listIJNS_9statement3ForILl0ENS_6policy3hip11hip_indexerINS_17iteration_mapping6DirectELNS_23kernel_sync_requirementE0EJNS_3hip11IndexGlobalILNS_9named_dimE1ELi8ELi0EEEEEEJNSQ_ILl1ENST_ISV_LSW_0EJNSY_ILSZ_0ELi32ELi0EEEEEEJNSP_6LambdaILl0EJEEEEEEEEEEEENS0_9LoopTypesINSO_IJvvEEES1A_EEEEEEvT0_.num_agpr, 0
	.set _ZN4RAJA8internal22HipKernelLauncherFixedILi256ENS0_8LoopDataIN4camp5tupleIJNS_4SpanINS_9Iterators16numeric_iteratorIllPlEElEESA_EEENS4_IJEEENS3_9resources2v13HipEJZN8rajaperf9polybench19POLYBENCH_JACOBI_2D17runHipVariantImplILm256EEEvNSG_9VariantIDEEUlllE2_EEENS0_24HipStatementListExecutorISM_NS3_4listIJNS_9statement3ForILl0ENS_6policy3hip11hip_indexerINS_17iteration_mapping6DirectELNS_23kernel_sync_requirementE0EJNS_3hip11IndexGlobalILNS_9named_dimE1ELi8ELi0EEEEEEJNSQ_ILl1ENST_ISV_LSW_0EJNSY_ILSZ_0ELi32ELi0EEEEEEJNSP_6LambdaILl0EJEEEEEEEEEEEENS0_9LoopTypesINSO_IJvvEEES1A_EEEEEEvT0_.numbered_sgpr, 16
	.set _ZN4RAJA8internal22HipKernelLauncherFixedILi256ENS0_8LoopDataIN4camp5tupleIJNS_4SpanINS_9Iterators16numeric_iteratorIllPlEElEESA_EEENS4_IJEEENS3_9resources2v13HipEJZN8rajaperf9polybench19POLYBENCH_JACOBI_2D17runHipVariantImplILm256EEEvNSG_9VariantIDEEUlllE2_EEENS0_24HipStatementListExecutorISM_NS3_4listIJNS_9statement3ForILl0ENS_6policy3hip11hip_indexerINS_17iteration_mapping6DirectELNS_23kernel_sync_requirementE0EJNS_3hip11IndexGlobalILNS_9named_dimE1ELi8ELi0EEEEEEJNSQ_ILl1ENST_ISV_LSW_0EJNSY_ILSZ_0ELi32ELi0EEEEEEJNSP_6LambdaILl0EJEEEEEEEEEEEENS0_9LoopTypesINSO_IJvvEEES1A_EEEEEEvT0_.num_named_barrier, 0
	.set _ZN4RAJA8internal22HipKernelLauncherFixedILi256ENS0_8LoopDataIN4camp5tupleIJNS_4SpanINS_9Iterators16numeric_iteratorIllPlEElEESA_EEENS4_IJEEENS3_9resources2v13HipEJZN8rajaperf9polybench19POLYBENCH_JACOBI_2D17runHipVariantImplILm256EEEvNSG_9VariantIDEEUlllE2_EEENS0_24HipStatementListExecutorISM_NS3_4listIJNS_9statement3ForILl0ENS_6policy3hip11hip_indexerINS_17iteration_mapping6DirectELNS_23kernel_sync_requirementE0EJNS_3hip11IndexGlobalILNS_9named_dimE1ELi8ELi0EEEEEEJNSQ_ILl1ENST_ISV_LSW_0EJNSY_ILSZ_0ELi32ELi0EEEEEEJNSP_6LambdaILl0EJEEEEEEEEEEEENS0_9LoopTypesINSO_IJvvEEES1A_EEEEEEvT0_.private_seg_size, 0
	.set _ZN4RAJA8internal22HipKernelLauncherFixedILi256ENS0_8LoopDataIN4camp5tupleIJNS_4SpanINS_9Iterators16numeric_iteratorIllPlEElEESA_EEENS4_IJEEENS3_9resources2v13HipEJZN8rajaperf9polybench19POLYBENCH_JACOBI_2D17runHipVariantImplILm256EEEvNSG_9VariantIDEEUlllE2_EEENS0_24HipStatementListExecutorISM_NS3_4listIJNS_9statement3ForILl0ENS_6policy3hip11hip_indexerINS_17iteration_mapping6DirectELNS_23kernel_sync_requirementE0EJNS_3hip11IndexGlobalILNS_9named_dimE1ELi8ELi0EEEEEEJNSQ_ILl1ENST_ISV_LSW_0EJNSY_ILSZ_0ELi32ELi0EEEEEEJNSP_6LambdaILl0EJEEEEEEEEEEEENS0_9LoopTypesINSO_IJvvEEES1A_EEEEEEvT0_.uses_vcc, 1
	.set _ZN4RAJA8internal22HipKernelLauncherFixedILi256ENS0_8LoopDataIN4camp5tupleIJNS_4SpanINS_9Iterators16numeric_iteratorIllPlEElEESA_EEENS4_IJEEENS3_9resources2v13HipEJZN8rajaperf9polybench19POLYBENCH_JACOBI_2D17runHipVariantImplILm256EEEvNSG_9VariantIDEEUlllE2_EEENS0_24HipStatementListExecutorISM_NS3_4listIJNS_9statement3ForILl0ENS_6policy3hip11hip_indexerINS_17iteration_mapping6DirectELNS_23kernel_sync_requirementE0EJNS_3hip11IndexGlobalILNS_9named_dimE1ELi8ELi0EEEEEEJNSQ_ILl1ENST_ISV_LSW_0EJNSY_ILSZ_0ELi32ELi0EEEEEEJNSP_6LambdaILl0EJEEEEEEEEEEEENS0_9LoopTypesINSO_IJvvEEES1A_EEEEEEvT0_.uses_flat_scratch, 0
	.set _ZN4RAJA8internal22HipKernelLauncherFixedILi256ENS0_8LoopDataIN4camp5tupleIJNS_4SpanINS_9Iterators16numeric_iteratorIllPlEElEESA_EEENS4_IJEEENS3_9resources2v13HipEJZN8rajaperf9polybench19POLYBENCH_JACOBI_2D17runHipVariantImplILm256EEEvNSG_9VariantIDEEUlllE2_EEENS0_24HipStatementListExecutorISM_NS3_4listIJNS_9statement3ForILl0ENS_6policy3hip11hip_indexerINS_17iteration_mapping6DirectELNS_23kernel_sync_requirementE0EJNS_3hip11IndexGlobalILNS_9named_dimE1ELi8ELi0EEEEEEJNSQ_ILl1ENST_ISV_LSW_0EJNSY_ILSZ_0ELi32ELi0EEEEEEJNSP_6LambdaILl0EJEEEEEEEEEEEENS0_9LoopTypesINSO_IJvvEEES1A_EEEEEEvT0_.has_dyn_sized_stack, 0
	.set _ZN4RAJA8internal22HipKernelLauncherFixedILi256ENS0_8LoopDataIN4camp5tupleIJNS_4SpanINS_9Iterators16numeric_iteratorIllPlEElEESA_EEENS4_IJEEENS3_9resources2v13HipEJZN8rajaperf9polybench19POLYBENCH_JACOBI_2D17runHipVariantImplILm256EEEvNSG_9VariantIDEEUlllE2_EEENS0_24HipStatementListExecutorISM_NS3_4listIJNS_9statement3ForILl0ENS_6policy3hip11hip_indexerINS_17iteration_mapping6DirectELNS_23kernel_sync_requirementE0EJNS_3hip11IndexGlobalILNS_9named_dimE1ELi8ELi0EEEEEEJNSQ_ILl1ENST_ISV_LSW_0EJNSY_ILSZ_0ELi32ELi0EEEEEEJNSP_6LambdaILl0EJEEEEEEEEEEEENS0_9LoopTypesINSO_IJvvEEES1A_EEEEEEvT0_.has_recursion, 0
	.set _ZN4RAJA8internal22HipKernelLauncherFixedILi256ENS0_8LoopDataIN4camp5tupleIJNS_4SpanINS_9Iterators16numeric_iteratorIllPlEElEESA_EEENS4_IJEEENS3_9resources2v13HipEJZN8rajaperf9polybench19POLYBENCH_JACOBI_2D17runHipVariantImplILm256EEEvNSG_9VariantIDEEUlllE2_EEENS0_24HipStatementListExecutorISM_NS3_4listIJNS_9statement3ForILl0ENS_6policy3hip11hip_indexerINS_17iteration_mapping6DirectELNS_23kernel_sync_requirementE0EJNS_3hip11IndexGlobalILNS_9named_dimE1ELi8ELi0EEEEEEJNSQ_ILl1ENST_ISV_LSW_0EJNSY_ILSZ_0ELi32ELi0EEEEEEJNSP_6LambdaILl0EJEEEEEEEEEEEENS0_9LoopTypesINSO_IJvvEEES1A_EEEEEEvT0_.has_indirect_call, 0
	.section	.AMDGPU.csdata,"",@progbits
; Kernel info:
; codeLenInByte = 472
; TotalNumSgprs: 20
; NumVgprs: 18
; ScratchSize: 0
; MemoryBound: 0
; FloatMode: 240
; IeeeMode: 1
; LDSByteSize: 0 bytes/workgroup (compile time only)
; SGPRBlocks: 2
; VGPRBlocks: 4
; NumSGPRsForWavesPerEU: 20
; NumVGPRsForWavesPerEU: 18
; Occupancy: 10
; WaveLimiterHint : 0
; COMPUTE_PGM_RSRC2:SCRATCH_EN: 0
; COMPUTE_PGM_RSRC2:USER_SGPR: 6
; COMPUTE_PGM_RSRC2:TRAP_HANDLER: 0
; COMPUTE_PGM_RSRC2:TGID_X_EN: 1
; COMPUTE_PGM_RSRC2:TGID_Y_EN: 1
; COMPUTE_PGM_RSRC2:TGID_Z_EN: 0
; COMPUTE_PGM_RSRC2:TIDIG_COMP_CNT: 1
	.section	.AMDGPU.gpr_maximums,"",@progbits
	.set amdgpu.max_num_vgpr, 0
	.set amdgpu.max_num_agpr, 0
	.set amdgpu.max_num_sgpr, 0
	.section	.AMDGPU.csdata,"",@progbits
	.type	__hip_cuid_50a34f7739826fc0,@object ; @__hip_cuid_50a34f7739826fc0
	.section	.bss,"aw",@nobits
	.globl	__hip_cuid_50a34f7739826fc0
__hip_cuid_50a34f7739826fc0:
	.byte	0                               ; 0x0
	.size	__hip_cuid_50a34f7739826fc0, 1

	.ident	"AMD clang version 22.0.0git (https://github.com/RadeonOpenCompute/llvm-project roc-7.2.4 26084 f58b06dce1f9c15707c5f808fd002e18c2accf7e)"
	.section	".note.GNU-stack","",@progbits
	.addrsig
	.addrsig_sym __hip_cuid_50a34f7739826fc0
	.amdgpu_metadata
---
amdhsa.kernels:
  - .args:
      - .address_space:  global
        .offset:         0
        .size:           8
        .value_kind:     global_buffer
      - .address_space:  global
        .offset:         8
        .size:           8
        .value_kind:     global_buffer
      - .offset:         16
        .size:           8
        .value_kind:     by_value
    .group_segment_fixed_size: 0
    .kernarg_segment_align: 8
    .kernarg_segment_size: 24
    .language:       OpenCL C
    .language_version:
      - 2
      - 0
    .max_flat_workgroup_size: 256
    .name:           _ZN8rajaperf9polybench16poly_jacobi_2D_1ILm32ELm8EEEvPdS2_l
    .private_segment_fixed_size: 0
    .sgpr_count:     14
    .sgpr_spill_count: 0
    .symbol:         _ZN8rajaperf9polybench16poly_jacobi_2D_1ILm32ELm8EEEvPdS2_l.kd
    .uniform_work_group_size: 1
    .uses_dynamic_stack: false
    .vgpr_count:     18
    .vgpr_spill_count: 0
    .wavefront_size: 64
  - .args:
      - .address_space:  global
        .offset:         0
        .size:           8
        .value_kind:     global_buffer
      - .address_space:  global
        .offset:         8
        .size:           8
        .value_kind:     global_buffer
      - .offset:         16
        .size:           8
        .value_kind:     by_value
    .group_segment_fixed_size: 0
    .kernarg_segment_align: 8
    .kernarg_segment_size: 24
    .language:       OpenCL C
    .language_version:
      - 2
      - 0
    .max_flat_workgroup_size: 256
    .name:           _ZN8rajaperf9polybench16poly_jacobi_2D_2ILm32ELm8EEEvPdS2_l
    .private_segment_fixed_size: 0
    .sgpr_count:     14
    .sgpr_spill_count: 0
    .symbol:         _ZN8rajaperf9polybench16poly_jacobi_2D_2ILm32ELm8EEEvPdS2_l.kd
    .uniform_work_group_size: 1
    .uses_dynamic_stack: false
    .vgpr_count:     18
    .vgpr_spill_count: 0
    .wavefront_size: 64
  - .args:
      - .offset:         0
        .size:           8
        .value_kind:     by_value
      - .offset:         8
        .size:           24
        .value_kind:     by_value
    .group_segment_fixed_size: 0
    .kernarg_segment_align: 8
    .kernarg_segment_size: 32
    .language:       OpenCL C
    .language_version:
      - 2
      - 0
    .max_flat_workgroup_size: 256
    .name:           _ZN8rajaperf9polybench18poly_jacobi_2D_lamILm32ELm8EZNS0_19POLYBENCH_JACOBI_2D17runHipVariantImplILm256EEEvNS_9VariantIDEEUlllE_EEvlT1_
    .private_segment_fixed_size: 0
    .sgpr_count:     14
    .sgpr_spill_count: 0
    .symbol:         _ZN8rajaperf9polybench18poly_jacobi_2D_lamILm32ELm8EZNS0_19POLYBENCH_JACOBI_2D17runHipVariantImplILm256EEEvNS_9VariantIDEEUlllE_EEvlT1_.kd
    .uniform_work_group_size: 1
    .uses_dynamic_stack: false
    .vgpr_count:     18
    .vgpr_spill_count: 0
    .wavefront_size: 64
  - .args:
      - .offset:         0
        .size:           8
        .value_kind:     by_value
      - .offset:         8
        .size:           24
        .value_kind:     by_value
    .group_segment_fixed_size: 0
    .kernarg_segment_align: 8
    .kernarg_segment_size: 32
    .language:       OpenCL C
    .language_version:
      - 2
      - 0
    .max_flat_workgroup_size: 256
    .name:           _ZN8rajaperf9polybench18poly_jacobi_2D_lamILm32ELm8EZNS0_19POLYBENCH_JACOBI_2D17runHipVariantImplILm256EEEvNS_9VariantIDEEUlllE0_EEvlT1_
    .private_segment_fixed_size: 0
    .sgpr_count:     14
    .sgpr_spill_count: 0
    .symbol:         _ZN8rajaperf9polybench18poly_jacobi_2D_lamILm32ELm8EZNS0_19POLYBENCH_JACOBI_2D17runHipVariantImplILm256EEEvNS_9VariantIDEEUlllE0_EEvlT1_.kd
    .uniform_work_group_size: 1
    .uses_dynamic_stack: false
    .vgpr_count:     18
    .vgpr_spill_count: 0
    .wavefront_size: 64
  - .args:
      - .offset:         0
        .size:           224
        .value_kind:     by_value
    .group_segment_fixed_size: 0
    .kernarg_segment_align: 8
    .kernarg_segment_size: 224
    .language:       OpenCL C
    .language_version:
      - 2
      - 0
    .max_flat_workgroup_size: 256
    .name:           _ZN4RAJA8internal22HipKernelLauncherFixedILi256ENS0_8LoopDataIN4camp5tupleIJNS_4SpanINS_9Iterators16numeric_iteratorIllPlEElEESA_EEENS4_IJEEENS3_9resources2v13HipEJZN8rajaperf9polybench19POLYBENCH_JACOBI_2D17runHipVariantImplILm256EEEvNSG_9VariantIDEEUlllE1_EEENS0_24HipStatementListExecutorISM_NS3_4listIJNS_9statement3ForILl0ENS_6policy3hip11hip_indexerINS_17iteration_mapping6DirectELNS_23kernel_sync_requirementE0EJNS_3hip11IndexGlobalILNS_9named_dimE1ELi8ELi0EEEEEEJNSQ_ILl1ENST_ISV_LSW_0EJNSY_ILSZ_0ELi32ELi0EEEEEEJNSP_6LambdaILl0EJEEEEEEEEEEEENS0_9LoopTypesINSO_IJvvEEES1A_EEEEEEvT0_
    .private_segment_fixed_size: 0
    .sgpr_count:     20
    .sgpr_spill_count: 0
    .symbol:         _ZN4RAJA8internal22HipKernelLauncherFixedILi256ENS0_8LoopDataIN4camp5tupleIJNS_4SpanINS_9Iterators16numeric_iteratorIllPlEElEESA_EEENS4_IJEEENS3_9resources2v13HipEJZN8rajaperf9polybench19POLYBENCH_JACOBI_2D17runHipVariantImplILm256EEEvNSG_9VariantIDEEUlllE1_EEENS0_24HipStatementListExecutorISM_NS3_4listIJNS_9statement3ForILl0ENS_6policy3hip11hip_indexerINS_17iteration_mapping6DirectELNS_23kernel_sync_requirementE0EJNS_3hip11IndexGlobalILNS_9named_dimE1ELi8ELi0EEEEEEJNSQ_ILl1ENST_ISV_LSW_0EJNSY_ILSZ_0ELi32ELi0EEEEEEJNSP_6LambdaILl0EJEEEEEEEEEEEENS0_9LoopTypesINSO_IJvvEEES1A_EEEEEEvT0_.kd
    .uniform_work_group_size: 1
    .uses_dynamic_stack: false
    .vgpr_count:     18
    .vgpr_spill_count: 0
    .wavefront_size: 64
  - .args:
      - .offset:         0
        .size:           224
        .value_kind:     by_value
    .group_segment_fixed_size: 0
    .kernarg_segment_align: 8
    .kernarg_segment_size: 224
    .language:       OpenCL C
    .language_version:
      - 2
      - 0
    .max_flat_workgroup_size: 256
    .name:           _ZN4RAJA8internal22HipKernelLauncherFixedILi256ENS0_8LoopDataIN4camp5tupleIJNS_4SpanINS_9Iterators16numeric_iteratorIllPlEElEESA_EEENS4_IJEEENS3_9resources2v13HipEJZN8rajaperf9polybench19POLYBENCH_JACOBI_2D17runHipVariantImplILm256EEEvNSG_9VariantIDEEUlllE2_EEENS0_24HipStatementListExecutorISM_NS3_4listIJNS_9statement3ForILl0ENS_6policy3hip11hip_indexerINS_17iteration_mapping6DirectELNS_23kernel_sync_requirementE0EJNS_3hip11IndexGlobalILNS_9named_dimE1ELi8ELi0EEEEEEJNSQ_ILl1ENST_ISV_LSW_0EJNSY_ILSZ_0ELi32ELi0EEEEEEJNSP_6LambdaILl0EJEEEEEEEEEEEENS0_9LoopTypesINSO_IJvvEEES1A_EEEEEEvT0_
    .private_segment_fixed_size: 0
    .sgpr_count:     20
    .sgpr_spill_count: 0
    .symbol:         _ZN4RAJA8internal22HipKernelLauncherFixedILi256ENS0_8LoopDataIN4camp5tupleIJNS_4SpanINS_9Iterators16numeric_iteratorIllPlEElEESA_EEENS4_IJEEENS3_9resources2v13HipEJZN8rajaperf9polybench19POLYBENCH_JACOBI_2D17runHipVariantImplILm256EEEvNSG_9VariantIDEEUlllE2_EEENS0_24HipStatementListExecutorISM_NS3_4listIJNS_9statement3ForILl0ENS_6policy3hip11hip_indexerINS_17iteration_mapping6DirectELNS_23kernel_sync_requirementE0EJNS_3hip11IndexGlobalILNS_9named_dimE1ELi8ELi0EEEEEEJNSQ_ILl1ENST_ISV_LSW_0EJNSY_ILSZ_0ELi32ELi0EEEEEEJNSP_6LambdaILl0EJEEEEEEEEEEEENS0_9LoopTypesINSO_IJvvEEES1A_EEEEEEvT0_.kd
    .uniform_work_group_size: 1
    .uses_dynamic_stack: false
    .vgpr_count:     18
    .vgpr_spill_count: 0
    .wavefront_size: 64
amdhsa.target:   amdgcn-amd-amdhsa--gfx906
amdhsa.version:
  - 1
  - 2
...

	.end_amdgpu_metadata
